;; amdgpu-corpus repo=ROCm/rocFFT kind=compiled arch=gfx1201 opt=O3
	.text
	.amdgcn_target "amdgcn-amd-amdhsa--gfx1201"
	.amdhsa_code_object_version 6
	.protected	bluestein_single_back_len432_dim1_dp_op_CI_CI ; -- Begin function bluestein_single_back_len432_dim1_dp_op_CI_CI
	.globl	bluestein_single_back_len432_dim1_dp_op_CI_CI
	.p2align	8
	.type	bluestein_single_back_len432_dim1_dp_op_CI_CI,@function
bluestein_single_back_len432_dim1_dp_op_CI_CI: ; @bluestein_single_back_len432_dim1_dp_op_CI_CI
; %bb.0:
	s_load_b128 s[12:15], s[0:1], 0x28
	v_mul_u32_u24_e32 v1, 0x97c, v0
	v_mov_b32_e32 v7, 0
	s_mov_b32 s2, exec_lo
	s_delay_alu instid0(VALU_DEP_2) | instskip(NEXT) | instid1(VALU_DEP_1)
	v_lshrrev_b32_e32 v3, 16, v1
	v_lshl_add_u32 v6, ttmp9, 1, v3
	s_wait_kmcnt 0x0
	s_delay_alu instid0(VALU_DEP_1)
	v_cmpx_gt_u64_e64 s[12:13], v[6:7]
	s_cbranch_execz .LBB0_31
; %bb.1:
	s_clause 0x1
	s_load_b128 s[4:7], s[0:1], 0x18
	s_load_b64 s[12:13], s[0:1], 0x0
	v_mul_lo_u16 v1, v3, 27
	s_movk_i32 s2, 0xfefb
	s_mov_b32 s3, -1
	v_and_b32_e32 v3, 1, v3
	v_mov_b32_e32 v7, v6
	v_sub_nc_u16 v2, v0, v1
	scratch_store_b64 off, v[7:8], off offset:8 ; 8-byte Folded Spill
	v_and_b32_e32 v32, 0xffff, v2
	s_delay_alu instid0(VALU_DEP_1)
	v_or_b32_e32 v10, 0x120, v32
	s_wait_kmcnt 0x0
	s_load_b128 s[8:11], s[4:5], 0x0
	s_wait_kmcnt 0x0
	v_mad_co_u64_u32 v[0:1], null, s10, v6, 0
	v_mad_co_u64_u32 v[4:5], null, s8, v32, 0
	s_mul_u64 s[4:5], s[8:9], 0x90
	s_mul_u64 s[2:3], s[8:9], s[2:3]
	s_delay_alu instid0(SALU_CYCLE_1) | instskip(NEXT) | instid1(VALU_DEP_2)
	s_lshl_b64 s[2:3], s[2:3], 4
	v_mad_co_u64_u32 v[6:7], null, s11, v6, v[1:2]
	v_lshlrev_b32_e32 v28, 4, v32
	s_lshl_b64 s[10:11], s[4:5], 4
	s_mul_i32 s4, s9, 0xfffff8b0
	s_delay_alu instid0(SALU_CYCLE_1) | instskip(NEXT) | instid1(VALU_DEP_2)
	s_sub_co_i32 s4, s4, s8
	v_mov_b32_e32 v1, v6
	v_mad_co_u64_u32 v[7:8], null, s9, v32, v[5:6]
	v_mad_co_u64_u32 v[8:9], null, s8, v10, 0
	s_delay_alu instid0(VALU_DEP_3)
	v_lshlrev_b64_e32 v[0:1], 4, v[0:1]
	s_clause 0x8
	global_load_b128 v[152:155], v28, s[12:13]
	global_load_b128 v[144:147], v28, s[12:13] offset:432
	global_load_b128 v[148:151], v28, s[12:13] offset:4608
	;; [unrolled: 1-line block ×8, first 2 shown]
	v_mov_b32_e32 v5, v7
	s_clause 0x1
	global_load_b128 v[164:167], v28, s[12:13] offset:5472
	global_load_b128 v[168:171], v28, s[12:13] offset:5904
	v_mov_b32_e32 v6, v9
	v_add_co_u32 v12, vcc_lo, s14, v0
	v_lshlrev_b64_e32 v[4:5], 4, v[4:5]
	v_add_co_ci_u32_e32 v13, vcc_lo, s15, v1, vcc_lo
	s_delay_alu instid0(VALU_DEP_4)
	v_mad_co_u64_u32 v[0:1], null, s9, v10, v[6:7]
	s_clause 0x1
	global_load_b128 v[176:179], v28, s[12:13] offset:2304
	global_load_b128 v[172:175], v28, s[12:13] offset:1728
	v_add_co_u32 v4, vcc_lo, v12, v4
	s_wait_alu 0xfffd
	v_add_co_ci_u32_e32 v5, vcc_lo, v13, v5, vcc_lo
	s_wait_alu 0xfffe
	s_delay_alu instid0(VALU_DEP_2) | instskip(SKIP_1) | instid1(VALU_DEP_2)
	v_add_co_u32 v10, vcc_lo, v4, s10
	s_wait_alu 0xfffd
	v_add_co_ci_u32_e32 v11, vcc_lo, s11, v5, vcc_lo
	v_mov_b32_e32 v9, v0
	s_delay_alu instid0(VALU_DEP_2) | instskip(NEXT) | instid1(VALU_DEP_2)
	v_mad_co_u64_u32 v[0:1], null, 0xfffff8b0, s8, v[10:11]
	v_lshlrev_b64_e32 v[6:7], 4, v[8:9]
	s_delay_alu instid0(VALU_DEP_1) | instskip(NEXT) | instid1(VALU_DEP_3)
	v_add_co_u32 v16, vcc_lo, v12, v6
	v_add_nc_u32_e32 v1, s4, v1
	s_wait_alu 0xfffd
	s_delay_alu instid0(VALU_DEP_3)
	v_add_co_ci_u32_e32 v17, vcc_lo, v13, v7, vcc_lo
	v_add_co_u32 v20, vcc_lo, v0, s10
	s_wait_alu 0xfffd
	v_add_co_ci_u32_e32 v21, vcc_lo, s11, v1, vcc_lo
	s_clause 0x1
	global_load_b128 v[4:7], v[4:5], off
	global_load_b128 v[8:11], v[10:11], off
	v_add_co_u32 v24, vcc_lo, v20, s10
	s_wait_alu 0xfffd
	v_add_co_ci_u32_e32 v25, vcc_lo, s11, v21, vcc_lo
	global_load_b128 v[12:15], v[0:1], off
	v_add_co_u32 v0, vcc_lo, v24, s2
	s_wait_alu 0xfffd
	v_add_co_ci_u32_e32 v1, vcc_lo, s3, v25, vcc_lo
	s_clause 0x1
	global_load_b128 v[16:19], v[16:17], off
	global_load_b128 v[20:23], v[20:21], off
	v_add_co_u32 v29, vcc_lo, v0, s10
	s_wait_alu 0xfffd
	v_add_co_ci_u32_e32 v30, vcc_lo, s11, v1, vcc_lo
	global_load_b128 v[60:63], v[0:1], off
	v_add_co_u32 v33, vcc_lo, v29, s10
	s_wait_alu 0xfffd
	v_add_co_ci_u32_e32 v34, vcc_lo, s11, v30, vcc_lo
	;; [unrolled: 4-line block ×8, first 2 shown]
	global_load_b128 v[84:87], v[35:36], off
	global_load_b128 v[180:183], v28, s[12:13] offset:4032
	global_load_b128 v[88:91], v[29:30], off
	global_load_b128 v[184:187], v28, s[12:13] offset:6336
	global_load_b128 v[92:95], v[0:1], off
	v_cmp_eq_u32_e32 vcc_lo, 1, v3
	s_wait_loadcnt 0x1d
	scratch_store_b128 off, v[152:155], off offset:112 ; 16-byte Folded Spill
	s_wait_loadcnt 0x1c
	scratch_store_b128 off, v[144:147], off offset:80 ; 16-byte Folded Spill
	;; [unrolled: 2-line block ×3, first 2 shown]
	s_wait_loadcnt 0x19
	s_clause 0x1
	scratch_store_b128 off, v[132:135], off offset:32
	scratch_store_b128 off, v[55:58], off offset:16
	s_wait_loadcnt 0x17
	s_clause 0x1
	scratch_store_b128 off, v[140:143], off offset:64
	scratch_store_b128 off, v[136:139], off offset:48
	s_wait_loadcnt 0x14
	s_clause 0x2
	scratch_store_b128 off, v[164:167], off offset:160
	scratch_store_b128 off, v[160:163], off offset:144
	scratch_store_b128 off, v[156:159], off offset:128
	s_wait_loadcnt 0x13
	scratch_store_b128 off, v[168:171], off offset:176 ; 16-byte Folded Spill
	s_wait_loadcnt 0x12
	scratch_store_b128 off, v[176:179], off offset:208 ; 16-byte Folded Spill
	;; [unrolled: 2-line block ×3, first 2 shown]
	s_wait_loadcnt 0x10
	v_mul_f64_e32 v[29:30], v[6:7], v[154:155]
	v_mul_f64_e32 v[33:34], v[4:5], v[154:155]
	s_wait_loadcnt 0xf
	v_mul_f64_e32 v[39:40], v[10:11], v[178:179]
	v_mul_f64_e32 v[41:42], v[8:9], v[178:179]
	;; [unrolled: 3-line block ×10, first 2 shown]
	v_fma_f64 v[4:5], v[4:5], v[152:153], v[29:30]
	v_fma_f64 v[6:7], v[6:7], v[152:153], -v[33:34]
	v_fma_f64 v[8:9], v[8:9], v[176:177], v[39:40]
	s_wait_loadcnt 0x6
	v_mul_f64_e32 v[51:52], v[26:27], v[57:58]
	v_mul_f64_e32 v[53:54], v[24:25], v[57:58]
	v_fma_f64 v[10:11], v[10:11], v[176:177], -v[41:42]
	v_fma_f64 v[12:13], v[12:13], v[144:145], v[43:44]
	v_fma_f64 v[14:15], v[14:15], v[144:145], -v[45:46]
	s_wait_loadcnt 0x5
	v_mul_f64_e32 v[116:117], v[82:83], v[170:171]
	s_wait_loadcnt 0x4
	v_mul_f64_e32 v[120:121], v[86:87], v[174:175]
	s_wait_loadcnt 0x3
	scratch_store_b128 off, v[180:183], off offset:224 ; 16-byte Folded Spill
	v_mul_f64_e32 v[122:123], v[84:85], v[174:175]
	s_wait_loadcnt 0x2
	v_mul_f64_e32 v[124:125], v[90:91], v[182:183]
	v_mul_f64_e32 v[126:127], v[88:89], v[182:183]
	s_wait_loadcnt 0x0
	v_mul_f64_e32 v[128:129], v[94:95], v[186:187]
	v_mul_f64_e32 v[130:131], v[92:93], v[186:187]
	;; [unrolled: 1-line block ×3, first 2 shown]
	v_fma_f64 v[16:17], v[16:17], v[148:149], v[35:36]
	v_fma_f64 v[18:19], v[18:19], v[148:149], -v[37:38]
	v_fma_f64 v[20:21], v[20:21], v[132:133], v[47:48]
	v_fma_f64 v[22:23], v[22:23], v[132:133], -v[49:50]
	;; [unrolled: 2-line block ×4, first 2 shown]
	scratch_store_b128 off, v[184:187], off offset:240 ; 16-byte Folded Spill
	v_fma_f64 v[68:69], v[68:69], v[164:165], v[104:105]
	v_fma_f64 v[70:71], v[70:71], v[164:165], -v[106:107]
	s_load_b64 s[8:9], s[0:1], 0x38
	s_load_b128 s[4:7], s[6:7], 0x0
	v_cndmask_b32_e64 v29, 0, 0x1b0, vcc_lo
	v_add_co_u32 v30, s14, s12, v28
	v_fma_f64 v[72:73], v[72:73], v[156:157], v[108:109]
	v_fma_f64 v[74:75], v[74:75], v[156:157], -v[110:111]
	s_delay_alu instid0(VALU_DEP_4)
	v_lshlrev_b32_e32 v57, 4, v29
	s_wait_alu 0xf1ff
	v_add_co_ci_u32_e64 v31, null, s13, 0, s14
	v_fma_f64 v[76:77], v[76:77], v[160:161], v[112:113]
	v_fma_f64 v[78:79], v[78:79], v[160:161], -v[114:115]
	v_add_nc_u32_e32 v34, v57, v28
	v_cmp_gt_u16_e32 vcc_lo, 9, v2
	v_fma_f64 v[24:25], v[24:25], v[55:56], v[51:52]
	v_fma_f64 v[26:27], v[26:27], v[55:56], -v[53:54]
	scratch_store_b64 off, v[30:31], off    ; 8-byte Folded Spill
	v_fma_f64 v[80:81], v[80:81], v[168:169], v[116:117]
	v_fma_f64 v[84:85], v[84:85], v[172:173], v[120:121]
	v_fma_f64 v[86:87], v[86:87], v[172:173], -v[122:123]
	v_fma_f64 v[88:89], v[88:89], v[180:181], v[124:125]
	v_fma_f64 v[90:91], v[90:91], v[180:181], -v[126:127]
	;; [unrolled: 2-line block ×3, first 2 shown]
	v_fma_f64 v[82:83], v[82:83], v[168:169], -v[118:119]
	ds_store_b128 v34, v[4:7]
	ds_store_b128 v34, v[12:15] offset:432
	ds_store_b128 v34, v[16:19] offset:4608
	;; [unrolled: 1-line block ×14, first 2 shown]
	s_and_saveexec_b32 s14, vcc_lo
	s_cbranch_execz .LBB0_3
; %bb.2:
	scratch_load_b64 v[16:17], off, off     ; 8-byte Folded Reload
	v_add_co_u32 v0, s2, v0, s2
	s_wait_alu 0xf1ff
	v_add_co_ci_u32_e64 v1, s2, s3, v1, s2
	s_delay_alu instid0(VALU_DEP_2) | instskip(SKIP_1) | instid1(VALU_DEP_2)
	v_add_co_u32 v8, s2, v0, s10
	s_wait_alu 0xf1ff
	v_add_co_ci_u32_e64 v9, s2, s11, v1, s2
	global_load_b128 v[0:3], v[0:1], off
	v_add_co_u32 v20, s2, v8, s10
	s_wait_alu 0xf1ff
	v_add_co_ci_u32_e64 v21, s2, s11, v9, s2
	s_wait_loadcnt 0x1
	global_load_b128 v[4:7], v[16:17], off offset:2160
	global_load_b128 v[8:11], v[8:9], off
	s_clause 0x1
	global_load_b128 v[12:15], v[16:17], off offset:4464
	global_load_b128 v[16:19], v[16:17], off offset:6768
	global_load_b128 v[20:23], v[20:21], off
	s_wait_loadcnt 0x4
	v_mul_f64_e32 v[24:25], v[2:3], v[6:7]
	v_mul_f64_e32 v[6:7], v[0:1], v[6:7]
	s_wait_loadcnt 0x2
	v_mul_f64_e32 v[26:27], v[10:11], v[14:15]
	v_mul_f64_e32 v[14:15], v[8:9], v[14:15]
	;; [unrolled: 3-line block ×3, first 2 shown]
	v_fma_f64 v[0:1], v[0:1], v[4:5], v[24:25]
	v_fma_f64 v[2:3], v[2:3], v[4:5], -v[6:7]
	v_fma_f64 v[4:5], v[8:9], v[12:13], v[26:27]
	v_fma_f64 v[6:7], v[10:11], v[12:13], -v[14:15]
	;; [unrolled: 2-line block ×3, first 2 shown]
	ds_store_b128 v34, v[0:3] offset:2160
	ds_store_b128 v34, v[4:7] offset:4464
	;; [unrolled: 1-line block ×3, first 2 shown]
.LBB0_3:
	s_wait_alu 0xfffe
	s_or_b32 exec_lo, exec_lo, s14
	global_wb scope:SCOPE_SE
	s_wait_storecnt_dscnt 0x0
	s_wait_kmcnt 0x0
	s_barrier_signal -1
	s_barrier_wait -1
	global_inv scope:SCOPE_SE
	ds_load_b128 v[12:15], v34
	ds_load_b128 v[8:11], v34 offset:432
	ds_load_b128 v[72:75], v34 offset:4608
	;; [unrolled: 1-line block ×14, first 2 shown]
                                        ; implicit-def: $vgpr60_vgpr61
                                        ; implicit-def: $vgpr64_vgpr65
                                        ; implicit-def: $vgpr68_vgpr69
	s_and_saveexec_b32 s2, vcc_lo
	s_cbranch_execz .LBB0_5
; %bb.4:
	ds_load_b128 v[60:63], v34 offset:2160
	ds_load_b128 v[64:67], v34 offset:4464
	;; [unrolled: 1-line block ×3, first 2 shown]
.LBB0_5:
	s_wait_alu 0xfffe
	s_or_b32 exec_lo, exec_lo, s2
	s_wait_dscnt 0x4
	v_add_f64_e32 v[35:36], v[100:101], v[72:73]
	v_add_f64_e32 v[37:38], v[102:103], v[74:75]
	;; [unrolled: 1-line block ×6, first 2 shown]
	s_wait_dscnt 0x2
	v_add_f64_e32 v[47:48], v[92:93], v[80:81]
	v_add_f64_e32 v[49:50], v[94:95], v[82:83]
	s_wait_dscnt 0x0
	v_add_f64_e32 v[51:52], v[88:89], v[4:5]
	v_add_f64_e32 v[53:54], v[90:91], v[6:7]
	;; [unrolled: 1-line block ×5, first 2 shown]
	v_add_f64_e64 v[110:111], v[102:103], -v[74:75]
	v_add_f64_e32 v[102:103], v[14:15], v[102:103]
	v_add_f64_e64 v[100:101], v[100:101], -v[72:73]
	v_add_f64_e32 v[112:113], v[8:9], v[96:97]
	;; [unrolled: 2-line block ×4, first 2 shown]
	v_add_f64_e32 v[118:119], v[26:27], v[86:87]
	v_add_f64_e32 v[120:121], v[16:17], v[92:93]
	;; [unrolled: 1-line block ×3, first 2 shown]
	v_add_f64_e64 v[128:129], v[86:87], -v[2:3]
	v_add_f64_e64 v[130:131], v[84:85], -v[0:1]
	;; [unrolled: 1-line block ×7, first 2 shown]
	v_add_f64_e32 v[124:125], v[20:21], v[88:89]
	v_add_f64_e32 v[126:127], v[22:23], v[90:91]
	s_load_b64 s[2:3], s[0:1], 0x8
	v_add_co_u32 v31, s0, v32, 27
	s_wait_alu 0xf1ff
	v_add_co_ci_u32_e64 v200, null, 0, 0, s0
	v_fma_f64 v[35:36], v[35:36], -0.5, v[12:13]
	v_fma_f64 v[37:38], v[37:38], -0.5, v[14:15]
	;; [unrolled: 1-line block ×6, first 2 shown]
	v_add_f64_e64 v[45:46], v[88:89], -v[4:5]
	v_fma_f64 v[47:48], v[47:48], -0.5, v[16:17]
	v_fma_f64 v[49:50], v[49:50], -0.5, v[18:19]
	;; [unrolled: 1-line block ×6, first 2 shown]
	v_add_co_u32 v8, s0, 0x51, v32
	s_wait_alu 0xf1ff
	v_add_co_ci_u32_e64 v9, null, 0, 0, s0
	s_mov_b32 s0, 0xe8584caa
	s_mov_b32 s1, 0x3febb67a
	;; [unrolled: 1-line block ×3, first 2 shown]
	s_wait_alu 0xfffe
	s_mov_b32 s10, s0
	v_add_f64_e32 v[9:10], v[108:109], v[72:73]
	v_add_f64_e32 v[11:12], v[102:103], v[74:75]
	;; [unrolled: 1-line block ×8, first 2 shown]
	v_add_co_u32 v30, null, v32, 54
	v_add_f64_e32 v[21:22], v[124:125], v[4:5]
	v_add_f64_e32 v[23:24], v[126:127], v[6:7]
	v_mul_lo_u16 v7, v32, 3
	v_add_co_u32 v6, null, 0x6c, v32
	global_wb scope:SCOPE_SE
	s_wait_kmcnt 0x0
	s_barrier_signal -1
	s_wait_alu 0xfffe
	v_fma_f64 v[76:77], v[110:111], s[10:11], v[35:36]
	v_fma_f64 v[78:79], v[100:101], s[0:1], v[37:38]
	;; [unrolled: 1-line block ×24, first 2 shown]
	v_and_b32_e32 v7, 0xffff, v7
	v_mul_u32_u24_e32 v25, 3, v31
	v_mul_u32_u24_e32 v26, 3, v30
	v_add_co_u32 v4, s0, 0x87, v32
	s_delay_alu instid0(VALU_DEP_4)
	v_lshl_add_u32 v7, v7, 4, v57
	s_barrier_wait -1
	global_inv scope:SCOPE_SE
	v_lshl_add_u32 v27, v25, 4, v57
	v_lshl_add_u32 v25, v26, 4, v57
	s_wait_alu 0xf1ff
	v_add_co_ci_u32_e64 v5, null, 0, 0, s0
	ds_store_b128 v7, v[9:12]
	ds_store_b128 v7, v[72:75] offset:16
	scratch_store_b32 off, v7, off offset:272 ; 4-byte Folded Spill
	ds_store_b128 v7, v[76:79] offset:32
	v_mul_u32_u24_e32 v7, 3, v8
	v_mul_u32_u24_e32 v9, 3, v6
	ds_store_b128 v27, v[13:16]
	ds_store_b128 v27, v[80:83] offset:16
	scratch_store_b32 off, v27, off offset:268 ; 4-byte Folded Spill
	ds_store_b128 v27, v[84:87] offset:32
	v_lshl_add_u32 v7, v7, 4, v57
	ds_store_b128 v25, v[0:3]
	ds_store_b128 v25, v[88:91] offset:16
	v_lshl_add_u32 v0, v9, 4, v57
	v_mul_u32_u24_e32 v1, 3, v4
	scratch_store_b32 off, v25, off offset:264 ; 4-byte Folded Spill
	ds_store_b128 v25, v[92:95] offset:32
	ds_store_b128 v7, v[17:20]
	ds_store_b128 v7, v[96:99] offset:16
	s_clause 0x1
	scratch_store_b32 off, v1, off offset:300
	scratch_store_b32 off, v7, off offset:260
	ds_store_b128 v7, v[100:103] offset:32
	ds_store_b128 v0, v[21:24]
	ds_store_b128 v0, v[104:107] offset:16
	scratch_store_b32 off, v0, off offset:256 ; 4-byte Folded Spill
	ds_store_b128 v0, v[108:111] offset:32
	s_and_saveexec_b32 s0, vcc_lo
	s_cbranch_execz .LBB0_7
; %bb.6:
	v_add_f64_e32 v[0:1], v[62:63], v[66:67]
	v_add_f64_e32 v[9:10], v[60:61], v[64:65]
	v_mul_u32_u24_e32 v7, 3, v4
	s_delay_alu instid0(VALU_DEP_1) | instskip(NEXT) | instid1(VALU_DEP_4)
	v_lshl_add_u32 v7, v7, 4, v57
	v_add_f64_e32 v[2:3], v[0:1], v[70:71]
	s_delay_alu instid0(VALU_DEP_4)
	v_add_f64_e32 v[0:1], v[9:10], v[68:69]
	ds_store_b128 v7, v[0:3]
	ds_store_b128 v7, v[160:163] offset:16
	ds_store_b128 v7, v[164:167] offset:32
.LBB0_7:
	s_wait_alu 0xfffe
	s_or_b32 exec_lo, exec_lo, s0
	v_and_b32_e32 v0, 0xff, v32
	global_wb scope:SCOPE_SE
	s_wait_storecnt_dscnt 0x0
	s_barrier_signal -1
	s_barrier_wait -1
	global_inv scope:SCOPE_SE
	v_mul_lo_u16 v0, 0xab, v0
	s_mov_b32 s0, 0x667f3bcd
	s_mov_b32 s1, 0xbfe6a09e
	;; [unrolled: 1-line block ×3, first 2 shown]
	s_wait_alu 0xfffe
	s_mov_b32 s10, s0
	v_lshrrev_b16 v7, 9, v0
	s_mov_b32 s14, 0xcf328d46
	s_mov_b32 s16, 0xa6aea964
	;; [unrolled: 1-line block ×4, first 2 shown]
	v_mul_lo_u16 v0, v7, 3
	s_mov_b32 s19, 0x3fd87de2
	s_mov_b32 s21, 0x3fed906b
	s_wait_alu 0xfffe
	s_mov_b32 s20, s14
	s_mov_b32 s18, s16
	v_sub_nc_u16 v0, v32, v0
	v_and_b32_e32 v7, 0xffff, v7
	s_delay_alu instid0(VALU_DEP_2) | instskip(NEXT) | instid1(VALU_DEP_2)
	v_and_b32_e32 v9, 0xff, v0
	v_mul_u32_u24_e32 v7, 48, v7
	s_delay_alu instid0(VALU_DEP_2) | instskip(NEXT) | instid1(VALU_DEP_2)
	v_mad_co_u64_u32 v[26:27], null, 0xf0, v9, s[2:3]
	v_or_b32_e32 v7, v7, v9
	s_clause 0x3
	global_load_b128 v[68:71], v[26:27], off
	global_load_b128 v[64:67], v[26:27], off offset:16
	global_load_b128 v[60:63], v[26:27], off offset:32
	;; [unrolled: 1-line block ×3, first 2 shown]
	ds_load_b128 v[0:3], v34 offset:432
	ds_load_b128 v[10:13], v34
	ds_load_b128 v[14:17], v34 offset:864
	ds_load_b128 v[18:21], v34 offset:1296
	v_lshl_add_u32 v33, v7, 4, v57
	s_wait_loadcnt_dscnt 0x303
	v_mul_f64_e32 v[22:23], v[2:3], v[70:71]
	v_mul_f64_e32 v[24:25], v[0:1], v[70:71]
	s_delay_alu instid0(VALU_DEP_2) | instskip(NEXT) | instid1(VALU_DEP_2)
	v_fma_f64 v[35:36], v[0:1], v[68:69], -v[22:23]
	v_fma_f64 v[37:38], v[2:3], v[68:69], v[24:25]
	s_wait_loadcnt_dscnt 0x201
	v_mul_f64_e32 v[0:1], v[16:17], v[66:67]
	v_mul_f64_e32 v[2:3], v[14:15], v[66:67]
	s_delay_alu instid0(VALU_DEP_2) | instskip(NEXT) | instid1(VALU_DEP_2)
	v_fma_f64 v[39:40], v[14:15], v[64:65], -v[0:1]
	v_fma_f64 v[41:42], v[16:17], v[64:65], v[2:3]
	;; [unrolled: 6-line block ×3, first 2 shown]
	ds_load_b128 v[0:3], v34 offset:1728
	ds_load_b128 v[14:17], v34 offset:2160
	s_clause 0x1
	global_load_b128 v[96:99], v[26:27], off offset:64
	global_load_b128 v[80:83], v[26:27], off offset:80
	s_wait_loadcnt_dscnt 0x201
	v_mul_f64_e32 v[18:19], v[2:3], v[74:75]
	s_delay_alu instid0(VALU_DEP_1) | instskip(SKIP_1) | instid1(VALU_DEP_1)
	v_fma_f64 v[47:48], v[0:1], v[72:73], -v[18:19]
	v_mul_f64_e32 v[0:1], v[0:1], v[74:75]
	v_fma_f64 v[49:50], v[2:3], v[72:73], v[0:1]
	s_wait_loadcnt_dscnt 0x100
	v_mul_f64_e32 v[0:1], v[16:17], v[98:99]
	s_delay_alu instid0(VALU_DEP_1) | instskip(SKIP_1) | instid1(VALU_DEP_1)
	v_fma_f64 v[51:52], v[14:15], v[96:97], -v[0:1]
	v_mul_f64_e32 v[0:1], v[14:15], v[98:99]
	v_fma_f64 v[53:54], v[16:17], v[96:97], v[0:1]
	ds_load_b128 v[0:3], v34 offset:2592
	ds_load_b128 v[14:17], v34 offset:3024
	s_clause 0x1
	global_load_b128 v[100:103], v[26:27], off offset:96
	global_load_b128 v[84:87], v[26:27], off offset:112
	s_wait_loadcnt_dscnt 0x201
	v_mul_f64_e32 v[18:19], v[2:3], v[82:83]
	s_delay_alu instid0(VALU_DEP_1) | instskip(SKIP_1) | instid1(VALU_DEP_1)
	v_fma_f64 v[124:125], v[0:1], v[80:81], -v[18:19]
	v_mul_f64_e32 v[0:1], v[0:1], v[82:83]
	v_fma_f64 v[126:127], v[2:3], v[80:81], v[0:1]
	s_wait_loadcnt_dscnt 0x100
	v_mul_f64_e32 v[0:1], v[16:17], v[102:103]
	s_delay_alu instid0(VALU_DEP_1) | instskip(SKIP_1) | instid1(VALU_DEP_1)
	v_fma_f64 v[128:129], v[14:15], v[100:101], -v[0:1]
	v_mul_f64_e32 v[0:1], v[14:15], v[102:103]
	v_fma_f64 v[130:131], v[16:17], v[100:101], v[0:1]
	ds_load_b128 v[0:3], v34 offset:3456
	ds_load_b128 v[14:17], v34 offset:3888
	global_load_b128 v[104:107], v[26:27], off offset:176
	s_wait_loadcnt_dscnt 0x101
	v_mul_f64_e32 v[18:19], v[2:3], v[86:87]
	s_delay_alu instid0(VALU_DEP_1) | instskip(SKIP_1) | instid1(VALU_DEP_1)
	v_fma_f64 v[132:133], v[0:1], v[84:85], -v[18:19]
	v_mul_f64_e32 v[0:1], v[0:1], v[86:87]
	v_fma_f64 v[134:135], v[2:3], v[84:85], v[0:1]
	ds_load_b128 v[0:3], v34 offset:5184
	ds_load_b128 v[18:21], v34 offset:5616
	s_clause 0x1
	global_load_b128 v[76:79], v[26:27], off offset:160
	global_load_b128 v[108:111], v[26:27], off offset:144
	s_wait_loadcnt_dscnt 0x201
	v_mul_f64_e32 v[22:23], v[2:3], v[106:107]
	s_delay_alu instid0(VALU_DEP_1) | instskip(SKIP_1) | instid1(VALU_DEP_1)
	v_fma_f64 v[136:137], v[0:1], v[104:105], -v[22:23]
	v_mul_f64_e32 v[0:1], v[0:1], v[106:107]
	v_fma_f64 v[138:139], v[2:3], v[104:105], v[0:1]
	ds_load_b128 v[0:3], v34 offset:4320
	ds_load_b128 v[22:25], v34 offset:4752
	global_load_b128 v[88:91], v[26:27], off offset:128
	s_wait_loadcnt_dscnt 0x101
	v_mul_f64_e32 v[92:93], v[2:3], v[110:111]
	s_delay_alu instid0(VALU_DEP_1) | instskip(SKIP_4) | instid1(VALU_DEP_1)
	v_fma_f64 v[140:141], v[0:1], v[108:109], -v[92:93]
	s_clause 0x1
	global_load_b128 v[112:115], v[26:27], off offset:208
	global_load_b128 v[92:95], v[26:27], off offset:192
	v_mul_f64_e32 v[0:1], v[0:1], v[110:111]
	v_fma_f64 v[142:143], v[2:3], v[108:109], v[0:1]
	ds_load_b128 v[0:3], v34 offset:6048
	ds_load_b128 v[120:123], v34 offset:6480
	s_wait_loadcnt_dscnt 0x101
	v_mul_f64_e32 v[116:117], v[2:3], v[114:115]
	s_delay_alu instid0(VALU_DEP_1)
	v_fma_f64 v[144:145], v[0:1], v[112:113], -v[116:117]
	global_load_b128 v[116:119], v[26:27], off offset:224
	v_mul_f64_e32 v[0:1], v[0:1], v[114:115]
	global_wb scope:SCOPE_SE
	s_wait_loadcnt_dscnt 0x0
	s_barrier_signal -1
	s_barrier_wait -1
	global_inv scope:SCOPE_SE
	v_fma_f64 v[146:147], v[2:3], v[112:113], v[0:1]
	v_mul_f64_e32 v[0:1], v[16:17], v[90:91]
	v_add_f64_e64 v[2:3], v[12:13], -v[134:135]
	s_delay_alu instid0(VALU_DEP_2) | instskip(SKIP_1) | instid1(VALU_DEP_3)
	v_fma_f64 v[148:149], v[14:15], v[88:89], -v[0:1]
	v_mul_f64_e32 v[0:1], v[14:15], v[90:91]
	v_fma_f64 v[134:135], v[12:13], 2.0, -v[2:3]
	s_delay_alu instid0(VALU_DEP_2) | instskip(SKIP_1) | instid1(VALU_DEP_1)
	v_fma_f64 v[14:15], v[16:17], v[88:89], v[0:1]
	v_mul_f64_e32 v[0:1], v[20:21], v[94:95]
	v_fma_f64 v[16:17], v[18:19], v[92:93], -v[0:1]
	v_mul_f64_e32 v[0:1], v[18:19], v[94:95]
	s_delay_alu instid0(VALU_DEP_1) | instskip(SKIP_1) | instid1(VALU_DEP_2)
	v_fma_f64 v[18:19], v[20:21], v[92:93], v[0:1]
	v_mul_f64_e32 v[0:1], v[24:25], v[78:79]
	v_add_f64_e64 v[18:19], v[53:54], -v[18:19]
	s_delay_alu instid0(VALU_DEP_2) | instskip(SKIP_1) | instid1(VALU_DEP_2)
	v_fma_f64 v[20:21], v[22:23], v[76:77], -v[0:1]
	v_mul_f64_e32 v[0:1], v[22:23], v[78:79]
	v_add_f64_e64 v[150:151], v[43:44], -v[20:21]
	s_delay_alu instid0(VALU_DEP_2) | instskip(NEXT) | instid1(VALU_DEP_2)
	v_fma_f64 v[22:23], v[24:25], v[76:77], v[0:1]
	v_fma_f64 v[43:44], v[43:44], 2.0, -v[150:151]
	s_delay_alu instid0(VALU_DEP_2) | instskip(SKIP_1) | instid1(VALU_DEP_2)
	v_add_f64_e64 v[22:23], v[45:46], -v[22:23]
	v_mul_f64_e32 v[0:1], v[120:121], v[118:119]
	v_fma_f64 v[45:46], v[45:46], 2.0, -v[22:23]
	s_delay_alu instid0(VALU_DEP_2)
	v_fma_f64 v[24:25], v[122:123], v[116:117], v[0:1]
	v_mul_f64_e32 v[0:1], v[122:123], v[118:119]
	v_add_f64_e64 v[122:123], v[49:50], -v[138:139]
	v_add_f64_e64 v[138:139], v[41:42], -v[142:143]
	;; [unrolled: 1-line block ×5, first 2 shown]
	v_fma_f64 v[26:27], v[120:121], v[116:117], -v[0:1]
	v_add_f64_e64 v[0:1], v[10:11], -v[132:133]
	v_add_f64_e64 v[120:121], v[47:48], -v[136:137]
	;; [unrolled: 1-line block ×6, first 2 shown]
	v_fma_f64 v[12:13], v[49:50], 2.0, -v[122:123]
	v_fma_f64 v[37:38], v[37:38], 2.0, -v[146:147]
	;; [unrolled: 1-line block ×4, first 2 shown]
	v_add_f64_e64 v[24:25], v[128:129], -v[26:27]
	v_fma_f64 v[132:133], v[10:11], 2.0, -v[0:1]
	v_fma_f64 v[10:11], v[47:48], 2.0, -v[120:121]
	;; [unrolled: 1-line block ×8, first 2 shown]
	v_add_f64_e64 v[122:123], v[0:1], -v[122:123]
	v_add_f64_e64 v[142:143], v[136:137], -v[142:143]
	v_add_f64_e32 v[120:121], v[2:3], v[120:121]
	v_add_f64_e32 v[140:141], v[138:139], v[140:141]
	;; [unrolled: 1-line block ×3, first 2 shown]
	v_add_f64_e64 v[49:50], v[45:46], -v[49:50]
	v_fma_f64 v[51:52], v[128:129], 2.0, -v[24:25]
	v_add_f64_e64 v[128:129], v[134:135], -v[12:13]
	v_add_f64_e64 v[53:54], v[132:133], -v[10:11]
	v_add_f64_e32 v[24:25], v[22:23], v[24:25]
	v_add_f64_e64 v[152:153], v[39:40], -v[16:17]
	v_add_f64_e64 v[130:131], v[26:27], -v[14:15]
	;; [unrolled: 1-line block ×5, first 2 shown]
	v_fma_f64 v[22:23], v[22:23], 2.0, -v[24:25]
	v_add_f64_e64 v[124:125], v[53:54], -v[152:153]
	v_add_f64_e32 v[126:127], v[128:129], v[130:131]
	v_add_f64_e64 v[14:15], v[41:42], -v[49:50]
	v_add_f64_e32 v[16:17], v[47:48], v[51:52]
	s_delay_alu instid0(VALU_DEP_4) | instskip(NEXT) | instid1(VALU_DEP_4)
	v_fma_f64 v[156:157], v[53:54], 2.0, -v[124:125]
	v_fma_f64 v[158:159], v[128:129], 2.0, -v[126:127]
	;; [unrolled: 1-line block ×4, first 2 shown]
	v_fma_f64 v[10:11], v[14:15], s[10:11], v[124:125]
	v_fma_f64 v[154:155], v[41:42], 2.0, -v[14:15]
	v_fma_f64 v[12:13], v[16:17], s[10:11], v[126:127]
	s_delay_alu instid0(VALU_DEP_3) | instskip(NEXT) | instid1(VALU_DEP_2)
	v_fma_f64 v[10:11], v[16:17], s[0:1], v[10:11]
	v_fma_f64 v[12:13], v[14:15], s[10:11], v[12:13]
	v_fma_f64 v[14:15], v[47:48], 2.0, -v[16:17]
	v_fma_f64 v[16:17], v[154:155], s[0:1], v[156:157]
	s_delay_alu instid0(VALU_DEP_2) | instskip(NEXT) | instid1(VALU_DEP_2)
	v_fma_f64 v[168:169], v[14:15], s[0:1], v[158:159]
	v_fma_f64 v[14:15], v[14:15], s[0:1], v[16:17]
	s_delay_alu instid0(VALU_DEP_2) | instskip(SKIP_4) | instid1(VALU_DEP_4)
	v_fma_f64 v[16:17], v[154:155], s[10:11], v[168:169]
	v_add_f64_e64 v[154:155], v[144:145], -v[18:19]
	v_fma_f64 v[18:19], v[142:143], s[10:11], v[122:123]
	v_add_f64_e64 v[168:169], v[150:151], -v[20:21]
	v_fma_f64 v[20:21], v[24:25], s[10:11], v[148:149]
	v_fma_f64 v[144:145], v[144:145], 2.0, -v[154:155]
	s_delay_alu instid0(VALU_DEP_4) | instskip(SKIP_3) | instid1(VALU_DEP_4)
	v_fma_f64 v[170:171], v[140:141], s[0:1], v[18:19]
	v_fma_f64 v[18:19], v[140:141], s[10:11], v[120:121]
	v_fma_f64 v[150:151], v[150:151], 2.0, -v[168:169]
	v_fma_f64 v[20:21], v[168:169], s[10:11], v[20:21]
	v_fma_f64 v[180:181], v[122:123], 2.0, -v[170:171]
	s_delay_alu instid0(VALU_DEP_4)
	v_fma_f64 v[172:173], v[142:143], s[10:11], v[18:19]
	v_fma_f64 v[18:19], v[168:169], s[10:11], v[154:155]
	v_fma_f64 v[122:123], v[0:1], 2.0, -v[122:123]
	v_fma_f64 v[0:1], v[136:137], 2.0, -v[142:143]
	;; [unrolled: 1-line block ×6, first 2 shown]
	v_fma_f64 v[18:19], v[24:25], s[0:1], v[18:19]
	v_fma_f64 v[24:25], v[150:151], s[0:1], v[144:145]
	;; [unrolled: 1-line block ×3, first 2 shown]
	s_delay_alu instid0(VALU_DEP_4) | instskip(NEXT) | instid1(VALU_DEP_4)
	v_fma_f64 v[138:139], v[2:3], s[0:1], v[120:121]
	v_fma_f64 v[174:175], v[18:19], s[20:21], v[170:171]
	s_delay_alu instid0(VALU_DEP_4)
	v_fma_f64 v[24:25], v[22:23], s[0:1], v[24:25]
	v_fma_f64 v[22:23], v[22:23], s[0:1], v[136:137]
	;; [unrolled: 1-line block ×5, first 2 shown]
	v_fma_f64 v[142:143], v[144:145], 2.0, -v[24:25]
	v_fma_f64 v[22:23], v[150:151], s[10:11], v[22:23]
	v_fma_f64 v[176:177], v[20:21], s[16:17], v[174:175]
	v_fma_f64 v[174:175], v[154:155], 2.0, -v[18:19]
	v_fma_f64 v[18:19], v[148:149], 2.0, -v[20:21]
	v_fma_f64 v[140:141], v[2:3], s[0:1], v[0:1]
	v_fma_f64 v[0:1], v[22:23], s[18:19], v[138:139]
	s_delay_alu instid0(VALU_DEP_4) | instskip(NEXT) | instid1(VALU_DEP_4)
	v_fma_f64 v[20:21], v[174:175], s[16:17], v[180:181]
	v_fma_f64 v[184:185], v[18:19], s[16:17], v[182:183]
	s_delay_alu instid0(VALU_DEP_4) | instskip(NEXT) | instid1(VALU_DEP_4)
	;; [unrolled: 3-line block ×3, first 2 shown]
	v_fma_f64 v[18:19], v[18:19], s[14:15], v[20:21]
	v_fma_f64 v[20:21], v[174:175], s[20:21], v[184:185]
	s_delay_alu instid0(VALU_DEP_4)
	v_fma_f64 v[0:1], v[22:23], s[14:15], v[144:145]
	v_fma_f64 v[22:23], v[136:137], 2.0, -v[22:23]
	v_fma_f64 v[136:137], v[122:123], 2.0, -v[140:141]
	v_fma_f64 v[144:145], v[120:121], 2.0, -v[138:139]
	v_fma_f64 v[122:123], v[126:127], 2.0, -v[12:13]
	v_fma_f64 v[126:127], v[172:173], 2.0, -v[178:179]
	s_delay_alu instid0(VALU_DEP_4) | instskip(NEXT) | instid1(VALU_DEP_4)
	v_fma_f64 v[24:25], v[142:143], s[14:15], v[136:137]
	v_fma_f64 v[120:121], v[22:23], s[14:15], v[144:145]
	s_delay_alu instid0(VALU_DEP_2) | instskip(NEXT) | instid1(VALU_DEP_2)
	v_fma_f64 v[22:23], v[22:23], s[16:17], v[24:25]
	v_fma_f64 v[24:25], v[142:143], s[18:19], v[120:121]
	v_fma_f64 v[120:121], v[124:125], 2.0, -v[10:11]
	v_fma_f64 v[124:125], v[170:171], 2.0, -v[176:177]
	ds_store_b128 v33, v[120:123] offset:288
	ds_store_b128 v33, v[124:127] offset:336
	v_fma_f64 v[120:121], v[156:157], 2.0, -v[14:15]
	v_fma_f64 v[122:123], v[158:159], 2.0, -v[16:17]
	ds_store_b128 v33, v[14:17] offset:480
	ds_store_b128 v33, v[18:21] offset:528
	v_fma_f64 v[14:15], v[180:181], 2.0, -v[18:19]
	v_fma_f64 v[16:17], v[182:183], 2.0, -v[20:21]
	;; [unrolled: 1-line block ×8, first 2 shown]
	v_add_f64_e64 v[41:42], v[53:54], -v[18:19]
	v_add_f64_e64 v[43:44], v[128:129], -v[20:21]
	s_delay_alu instid0(VALU_DEP_4) | instskip(NEXT) | instid1(VALU_DEP_4)
	v_add_f64_e64 v[37:38], v[35:36], -v[37:38]
	v_add_f64_e64 v[39:40], v[26:27], -v[39:40]
	s_delay_alu instid0(VALU_DEP_2) | instskip(NEXT) | instid1(VALU_DEP_2)
	v_add_f64_e64 v[18:19], v[41:42], -v[37:38]
	v_add_f64_e32 v[20:21], v[43:44], v[39:40]
	s_delay_alu instid0(VALU_DEP_2) | instskip(NEXT) | instid1(VALU_DEP_2)
	v_fma_f64 v[124:125], v[41:42], 2.0, -v[18:19]
	v_fma_f64 v[126:127], v[43:44], 2.0, -v[20:21]
	ds_store_b128 v33, v[18:21] offset:576
	v_fma_f64 v[18:19], v[140:141], 2.0, -v[0:1]
	v_fma_f64 v[20:21], v[138:139], 2.0, -v[2:3]
	ds_store_b128 v33, v[0:3] offset:624
	ds_store_b128 v33, v[120:123] offset:96
	;; [unrolled: 1-line block ×5, first 2 shown]
	v_fma_f64 v[14:15], v[53:54], 2.0, -v[41:42]
	v_fma_f64 v[16:17], v[128:129], 2.0, -v[43:44]
	v_fma_f64 v[0:1], v[26:27], 2.0, -v[39:40]
	v_fma_f64 v[2:3], v[35:36], 2.0, -v[37:38]
	s_delay_alu instid0(VALU_DEP_2) | instskip(NEXT) | instid1(VALU_DEP_2)
	v_add_f64_e64 v[0:1], v[14:15], -v[0:1]
	v_add_f64_e64 v[2:3], v[16:17], -v[2:3]
	s_delay_alu instid0(VALU_DEP_2) | instskip(NEXT) | instid1(VALU_DEP_2)
	v_fma_f64 v[14:15], v[14:15], 2.0, -v[0:1]
	v_fma_f64 v[16:17], v[16:17], 2.0, -v[2:3]
	ds_store_b128 v33, v[0:3] offset:384
	v_fma_f64 v[0:1], v[136:137], 2.0, -v[22:23]
	v_fma_f64 v[2:3], v[144:145], 2.0, -v[24:25]
	ds_store_b128 v33, v[22:25] offset:432
	ds_store_b128 v33, v[14:17]
	ds_store_b128 v33, v[0:3] offset:48
	ds_store_b128 v33, v[10:13] offset:672
	;; [unrolled: 1-line block ×3, first 2 shown]
	global_wb scope:SCOPE_SE
	s_wait_dscnt 0x0
	s_barrier_signal -1
	s_barrier_wait -1
	global_inv scope:SCOPE_SE
	ds_load_b128 v[196:199], v34
	ds_load_b128 v[188:191], v34 offset:432
	ds_load_b128 v[124:127], v34 offset:4608
	;; [unrolled: 1-line block ×14, first 2 shown]
	s_and_saveexec_b32 s0, vcc_lo
	s_cbranch_execz .LBB0_9
; %bb.8:
	ds_load_b128 v[176:179], v34 offset:2160
	ds_load_b128 v[160:163], v34 offset:4464
	;; [unrolled: 1-line block ×3, first 2 shown]
.LBB0_9:
	s_wait_alu 0xfffe
	s_or_b32 exec_lo, exec_lo, s0
	v_lshlrev_b32_e32 v0, 5, v32
	v_add_nc_u32_e32 v3, 6, v32
	s_mov_b32 s11, 0xbfebb67a
	s_clause 0x1
	global_load_b128 v[120:123], v0, s[2:3] offset:720
	global_load_b128 v[128:131], v0, s[2:3] offset:736
	v_lshlrev_b32_e32 v7, 5, v3
	s_wait_loadcnt_dscnt 0x104
	v_mul_f64_e32 v[1:2], v[134:135], v[122:123]
	s_wait_loadcnt 0x0
	v_mul_f64_e32 v[11:12], v[126:127], v[130:131]
	v_mul_f64_e32 v[9:10], v[132:133], v[122:123]
	s_delay_alu instid0(VALU_DEP_3) | instskip(NEXT) | instid1(VALU_DEP_3)
	v_fma_f64 v[1:2], v[132:133], v[120:121], -v[1:2]
	v_fma_f64 v[13:14], v[124:125], v[128:129], -v[11:12]
	v_mul_f64_e32 v[11:12], v[124:125], v[130:131]
	s_delay_alu instid0(VALU_DEP_4) | instskip(NEXT) | instid1(VALU_DEP_2)
	v_fma_f64 v[9:10], v[134:135], v[120:121], v[9:10]
	v_fma_f64 v[11:12], v[126:127], v[128:129], v[11:12]
	s_clause 0x1
	global_load_b128 v[124:127], v7, s[2:3] offset:720
	global_load_b128 v[132:135], v7, s[2:3] offset:736
	v_add_co_u32 v7, s0, 0xffffffeb, v32
	v_add_f64_e32 v[17:18], v[9:10], v[11:12]
	s_delay_alu instid0(VALU_DEP_1) | instskip(SKIP_3) | instid1(VALU_DEP_1)
	v_fma_f64 v[19:20], v[17:18], -0.5, v[198:199]
	v_add_f64_e32 v[17:18], v[198:199], v[9:10]
	s_wait_loadcnt 0x1
	v_mul_f64_e32 v[15:16], v[138:139], v[126:127]
	v_fma_f64 v[25:26], v[136:137], v[124:125], -v[15:16]
	v_mul_f64_e32 v[15:16], v[136:137], v[126:127]
	s_delay_alu instid0(VALU_DEP_1) | instskip(SKIP_2) | instid1(VALU_DEP_1)
	v_fma_f64 v[21:22], v[138:139], v[124:125], v[15:16]
	s_wait_loadcnt 0x0
	v_mul_f64_e32 v[15:16], v[142:143], v[134:135]
	v_fma_f64 v[35:36], v[140:141], v[132:133], -v[15:16]
	v_mul_f64_e32 v[15:16], v[140:141], v[134:135]
	s_delay_alu instid0(VALU_DEP_1) | instskip(SKIP_4) | instid1(VALU_DEP_1)
	v_fma_f64 v[23:24], v[142:143], v[132:133], v[15:16]
	s_wait_alu 0xf1ff
	v_add_co_ci_u32_e64 v15, null, 0, -1, s0
	v_cmp_gt_u16_e64 s0, 21, v32
	s_wait_alu 0xf1ff
	v_cndmask_b32_e64 v38, v15, v200, s0
	v_cndmask_b32_e64 v37, v7, v31, s0
	v_and_b32_e32 v7, 0xff, v8
	s_delay_alu instid0(VALU_DEP_2) | instskip(NEXT) | instid1(VALU_DEP_2)
	v_lshlrev_b64_e32 v[15:16], 5, v[37:38]
	v_mul_lo_u16 v7, 0xab, v7
	s_delay_alu instid0(VALU_DEP_2) | instskip(SKIP_1) | instid1(VALU_DEP_3)
	v_add_co_u32 v15, s0, s2, v15
	s_wait_alu 0xf1ff
	v_add_co_ci_u32_e64 v16, s0, s3, v16, s0
	s_clause 0x1
	global_load_b128 v[136:139], v[15:16], off offset:720
	global_load_b128 v[140:143], v[15:16], off offset:736
	v_lshrrev_b16 v7, 13, v7
	s_mov_b32 s0, 0xe8584caa
	s_mov_b32 s1, 0x3febb67a
	s_wait_alu 0xfffe
	s_mov_b32 s10, s0
	s_wait_loadcnt 0x1
	v_mul_f64_e32 v[15:16], v[150:151], v[138:139]
	s_delay_alu instid0(VALU_DEP_1) | instskip(SKIP_1) | instid1(VALU_DEP_1)
	v_fma_f64 v[38:39], v[148:149], v[136:137], -v[15:16]
	v_mul_f64_e32 v[15:16], v[148:149], v[138:139]
	v_fma_f64 v[40:41], v[150:151], v[136:137], v[15:16]
	s_wait_loadcnt 0x0
	v_mul_f64_e32 v[15:16], v[146:147], v[142:143]
	s_delay_alu instid0(VALU_DEP_1) | instskip(SKIP_1) | instid1(VALU_DEP_1)
	v_fma_f64 v[42:43], v[144:145], v[140:141], -v[15:16]
	v_mul_f64_e32 v[15:16], v[144:145], v[142:143]
	v_fma_f64 v[44:45], v[146:147], v[140:141], v[15:16]
	v_mul_lo_u16 v15, v7, 48
	s_delay_alu instid0(VALU_DEP_1) | instskip(NEXT) | instid1(VALU_DEP_1)
	v_sub_nc_u16 v15, v8, v15
	v_and_b32_e32 v27, 0xff, v15
	s_delay_alu instid0(VALU_DEP_1)
	v_lshlrev_b32_e32 v15, 5, v27
	s_clause 0x1
	global_load_b128 v[144:147], v15, s[2:3] offset:720
	global_load_b128 v[148:151], v15, s[2:3] offset:736
	s_wait_loadcnt_dscnt 0x102
	v_mul_f64_e32 v[15:16], v[158:159], v[146:147]
	s_delay_alu instid0(VALU_DEP_1) | instskip(SKIP_1) | instid1(VALU_DEP_1)
	v_fma_f64 v[46:47], v[156:157], v[144:145], -v[15:16]
	v_mul_f64_e32 v[15:16], v[156:157], v[146:147]
	v_fma_f64 v[48:49], v[158:159], v[144:145], v[15:16]
	s_wait_loadcnt 0x0
	v_mul_f64_e32 v[15:16], v[154:155], v[150:151]
	s_delay_alu instid0(VALU_DEP_1) | instskip(SKIP_1) | instid1(VALU_DEP_1)
	v_fma_f64 v[50:51], v[152:153], v[148:149], -v[15:16]
	v_mul_f64_e32 v[15:16], v[152:153], v[150:151]
	v_fma_f64 v[52:53], v[154:155], v[148:149], v[15:16]
	v_and_b32_e32 v15, 0xff, v6
	s_delay_alu instid0(VALU_DEP_1) | instskip(NEXT) | instid1(VALU_DEP_1)
	v_mul_lo_u16 v15, 0xab, v15
	v_lshrrev_b16 v15, 13, v15
	s_delay_alu instid0(VALU_DEP_1) | instskip(NEXT) | instid1(VALU_DEP_1)
	v_mul_lo_u16 v15, v15, 48
	v_sub_nc_u16 v15, v6, v15
	s_delay_alu instid0(VALU_DEP_1) | instskip(NEXT) | instid1(VALU_DEP_1)
	v_and_b32_e32 v54, 0xff, v15
	v_lshlrev_b32_e32 v15, 5, v54
	s_clause 0x1
	global_load_b128 v[152:155], v15, s[2:3] offset:720
	global_load_b128 v[156:159], v15, s[2:3] offset:736
	s_wait_loadcnt_dscnt 0x101
	v_mul_f64_e32 v[15:16], v[174:175], v[154:155]
	s_delay_alu instid0(VALU_DEP_1) | instskip(SKIP_1) | instid1(VALU_DEP_1)
	v_fma_f64 v[208:209], v[172:173], v[152:153], -v[15:16]
	v_mul_f64_e32 v[15:16], v[172:173], v[154:155]
	v_fma_f64 v[210:211], v[174:175], v[152:153], v[15:16]
	s_wait_loadcnt_dscnt 0x0
	v_mul_f64_e32 v[15:16], v[170:171], v[158:159]
	s_delay_alu instid0(VALU_DEP_1) | instskip(SKIP_1) | instid1(VALU_DEP_1)
	v_fma_f64 v[212:213], v[168:169], v[156:157], -v[15:16]
	v_mul_f64_e32 v[15:16], v[168:169], v[158:159]
	v_fma_f64 v[214:215], v[170:171], v[156:157], v[15:16]
	v_and_b32_e32 v15, 0xff, v4
	s_delay_alu instid0(VALU_DEP_1) | instskip(NEXT) | instid1(VALU_DEP_1)
	v_mul_lo_u16 v15, 0xab, v15
	v_lshrrev_b16 v15, 13, v15
	s_delay_alu instid0(VALU_DEP_1) | instskip(NEXT) | instid1(VALU_DEP_1)
	v_mul_lo_u16 v15, v15, 48
	v_sub_nc_u16 v15, v4, v15
	s_delay_alu instid0(VALU_DEP_1)
	v_and_b32_e32 v15, 0xff, v15
	scratch_store_b32 off, v15, off offset:276 ; 4-byte Folded Spill
	v_lshlrev_b32_e32 v15, 5, v15
	s_clause 0x1
	global_load_b128 v[168:171], v15, s[2:3] offset:720
	global_load_b128 v[172:175], v15, s[2:3] offset:736
	global_wb scope:SCOPE_SE
	s_wait_loadcnt 0x0
	s_wait_storecnt 0x0
	s_barrier_signal -1
	s_barrier_wait -1
	global_inv scope:SCOPE_SE
	v_mul_f64_e32 v[15:16], v[162:163], v[170:171]
	s_delay_alu instid0(VALU_DEP_1) | instskip(SKIP_2) | instid1(VALU_DEP_2)
	v_fma_f64 v[220:221], v[160:161], v[168:169], -v[15:16]
	v_mul_f64_e32 v[15:16], v[160:161], v[170:171]
	v_add_f64_e32 v[160:161], v[196:197], v[1:2]
	v_fma_f64 v[216:217], v[162:163], v[168:169], v[15:16]
	v_mul_f64_e32 v[15:16], v[166:167], v[174:175]
	v_add_f64_e64 v[162:163], v[9:10], -v[11:12]
	v_add_f64_e32 v[11:12], v[17:18], v[11:12]
	v_add_f64_e32 v[9:10], v[160:161], v[13:14]
	;; [unrolled: 1-line block ×3, first 2 shown]
	v_fma_f64 v[222:223], v[164:165], v[172:173], -v[15:16]
	v_mul_f64_e32 v[15:16], v[164:165], v[174:175]
	v_add_f64_e64 v[164:165], v[21:22], -v[23:24]
	s_delay_alu instid0(VALU_DEP_2) | instskip(SKIP_4) | instid1(VALU_DEP_4)
	v_fma_f64 v[218:219], v[166:167], v[172:173], v[15:16]
	v_add_f64_e32 v[15:16], v[1:2], v[13:14]
	v_add_f64_e64 v[1:2], v[1:2], -v[13:14]
	v_fma_f64 v[166:167], v[160:161], -0.5, v[194:195]
	v_add_f64_e32 v[160:161], v[194:195], v[21:22]
	v_fma_f64 v[15:16], v[15:16], -0.5, v[196:197]
	s_delay_alu instid0(VALU_DEP_2) | instskip(NEXT) | instid1(VALU_DEP_2)
	v_add_f64_e32 v[23:24], v[160:161], v[23:24]
	v_fma_f64 v[13:14], v[162:163], s[0:1], v[15:16]
	s_wait_alu 0xfffe
	v_fma_f64 v[17:18], v[162:163], s[10:11], v[15:16]
	v_fma_f64 v[15:16], v[1:2], s[10:11], v[19:20]
	;; [unrolled: 1-line block ×3, first 2 shown]
	v_add_f64_e32 v[1:2], v[25:26], v[35:36]
	v_add_f64_e32 v[162:163], v[192:193], v[25:26]
	v_add_f64_e64 v[25:26], v[25:26], -v[35:36]
	ds_store_b128 v34, v[9:12]
	ds_store_b128 v34, v[13:16] offset:768
	ds_store_b128 v34, v[17:20] offset:1536
	v_fma_f64 v[1:2], v[1:2], -0.5, v[192:193]
	v_add_f64_e32 v[21:22], v[162:163], v[35:36]
	v_fma_f64 v[162:163], v[25:26], s[10:11], v[166:167]
	v_fma_f64 v[166:167], v[25:26], s[0:1], v[166:167]
	v_add_f64_e32 v[25:26], v[40:41], v[44:45]
	v_add_f64_e32 v[35:36], v[190:191], v[40:41]
	v_add_f64_e64 v[40:41], v[40:41], -v[44:45]
	v_fma_f64 v[160:161], v[164:165], s[0:1], v[1:2]
	v_fma_f64 v[164:165], v[164:165], s[10:11], v[1:2]
	v_add_f64_e32 v[1:2], v[38:39], v[42:43]
	v_fma_f64 v[25:26], v[25:26], -0.5, v[190:191]
	v_add_f64_e32 v[190:191], v[35:36], v[44:45]
	v_add_f64_e64 v[35:36], v[38:39], -v[42:43]
	s_delay_alu instid0(VALU_DEP_4) | instskip(SKIP_2) | instid1(VALU_DEP_4)
	v_fma_f64 v[1:2], v[1:2], -0.5, v[188:189]
	v_add_f64_e32 v[188:189], v[188:189], v[38:39]
	v_add_f64_e32 v[38:39], v[184:185], v[46:47]
	v_fma_f64 v[194:195], v[35:36], s[10:11], v[25:26]
	v_fma_f64 v[198:199], v[35:36], s[0:1], v[25:26]
	v_add_f64_e32 v[25:26], v[48:49], v[52:53]
	v_add_f64_e32 v[35:36], v[186:187], v[48:49]
	v_fma_f64 v[192:193], v[40:41], s[0:1], v[1:2]
	v_fma_f64 v[196:197], v[40:41], s[10:11], v[1:2]
	v_add_f64_e32 v[1:2], v[46:47], v[50:51]
	v_add_f64_e64 v[40:41], v[48:49], -v[52:53]
	v_add_f64_e32 v[188:189], v[188:189], v[42:43]
	v_fma_f64 v[25:26], v[25:26], -0.5, v[186:187]
	v_add_f64_e32 v[186:187], v[35:36], v[52:53]
	v_add_f64_e64 v[35:36], v[46:47], -v[50:51]
	v_fma_f64 v[1:2], v[1:2], -0.5, v[184:185]
	v_add_f64_e32 v[184:185], v[38:39], v[50:51]
	v_add_f64_e32 v[38:39], v[180:181], v[208:209]
	s_delay_alu instid0(VALU_DEP_4)
	v_fma_f64 v[202:203], v[35:36], s[10:11], v[25:26]
	v_fma_f64 v[206:207], v[35:36], s[0:1], v[25:26]
	v_add_f64_e32 v[25:26], v[210:211], v[214:215]
	v_add_f64_e32 v[35:36], v[182:183], v[210:211]
	v_fma_f64 v[200:201], v[40:41], s[0:1], v[1:2]
	v_fma_f64 v[204:205], v[40:41], s[10:11], v[1:2]
	v_add_f64_e32 v[1:2], v[208:209], v[212:213]
	v_add_f64_e64 v[40:41], v[210:211], -v[214:215]
	v_fma_f64 v[25:26], v[25:26], -0.5, v[182:183]
	v_add_f64_e32 v[182:183], v[35:36], v[214:215]
	v_add_f64_e64 v[35:36], v[208:209], -v[212:213]
	v_fma_f64 v[1:2], v[1:2], -0.5, v[180:181]
	v_add_f64_e32 v[180:181], v[38:39], v[212:213]
	v_add_f64_e32 v[38:39], v[176:177], v[220:221]
	s_delay_alu instid0(VALU_DEP_4)
	v_fma_f64 v[210:211], v[35:36], s[10:11], v[25:26]
	v_fma_f64 v[214:215], v[35:36], s[0:1], v[25:26]
	v_add_f64_e32 v[25:26], v[216:217], v[218:219]
	v_add_f64_e32 v[35:36], v[178:179], v[216:217]
	v_fma_f64 v[208:209], v[40:41], s[0:1], v[1:2]
	v_fma_f64 v[212:213], v[40:41], s[10:11], v[1:2]
	v_add_f64_e32 v[1:2], v[220:221], v[222:223]
	v_add_f64_e64 v[40:41], v[216:217], -v[218:219]
	v_add_f64_e32 v[216:217], v[38:39], v[222:223]
	v_fma_f64 v[25:26], v[25:26], -0.5, v[178:179]
	v_add_f64_e32 v[218:219], v[35:36], v[218:219]
	v_add_f64_e64 v[35:36], v[220:221], -v[222:223]
	v_fma_f64 v[1:2], v[1:2], -0.5, v[176:177]
	s_delay_alu instid0(VALU_DEP_2) | instskip(SKIP_1) | instid1(VALU_DEP_3)
	v_fma_f64 v[246:247], v[35:36], s[0:1], v[25:26]
	v_fma_f64 v[242:243], v[35:36], s[10:11], v[25:26]
	;; [unrolled: 1-line block ×3, first 2 shown]
	v_cmp_lt_u16_e64 s0, 20, v32
	v_fma_f64 v[244:245], v[40:41], s[10:11], v[1:2]
	s_wait_alu 0xf1ff
	s_delay_alu instid0(VALU_DEP_2) | instskip(SKIP_1) | instid1(VALU_DEP_2)
	v_cndmask_b32_e64 v1, 0, 0x90, s0
	v_add_co_u32 v0, s0, s2, v0
	v_add_nc_u32_e32 v1, v37, v1
	s_delay_alu instid0(VALU_DEP_1)
	v_lshl_add_u32 v1, v1, 4, v57
	ds_store_b128 v1, v[188:191]
	ds_store_b128 v1, v[192:195] offset:768
	scratch_store_b32 off, v1, off offset:292 ; 4-byte Folded Spill
	ds_store_b128 v1, v[196:199] offset:1536
	ds_store_b128 v34, v[21:24] offset:2400
	v_lshl_add_u32 v1, v3, 4, v57
	scratch_store_b32 off, v1, off offset:288 ; 4-byte Folded Spill
	ds_store_b128 v1, v[160:163] offset:3072
	ds_store_b128 v34, v[164:167] offset:3936
	v_and_b32_e32 v1, 0xffff, v7
	s_delay_alu instid0(VALU_DEP_1) | instskip(NEXT) | instid1(VALU_DEP_1)
	v_mul_u32_u24_e32 v1, 0x90, v1
	v_add_nc_u32_e32 v1, v1, v27
	s_delay_alu instid0(VALU_DEP_1)
	v_lshl_add_u32 v1, v1, 4, v57
	ds_store_b128 v1, v[184:187]
	ds_store_b128 v1, v[200:203] offset:768
	scratch_store_b32 off, v1, off offset:284 ; 4-byte Folded Spill
	ds_store_b128 v1, v[204:207] offset:1536
	v_lshl_add_u32 v1, v54, 4, v57
	ds_store_b128 v1, v[180:183] offset:4608
	ds_store_b128 v1, v[208:211] offset:5376
	scratch_store_b32 off, v1, off offset:280 ; 4-byte Folded Spill
	ds_store_b128 v1, v[212:215] offset:6144
	s_wait_alu 0xf1ff
	v_add_co_ci_u32_e64 v1, null, s3, 0, s0
	s_and_saveexec_b32 s0, vcc_lo
	s_cbranch_execz .LBB0_11
; %bb.10:
	scratch_load_b32 v2, off, off offset:276 ; 4-byte Folded Reload
	s_wait_loadcnt 0x0
	v_lshl_add_u32 v2, v2, 4, v57
	ds_store_b128 v2, v[216:219] offset:4608
	ds_store_b128 v2, v[240:243] offset:5376
	;; [unrolled: 1-line block ×3, first 2 shown]
.LBB0_11:
	s_wait_alu 0xfffe
	s_or_b32 exec_lo, exec_lo, s0
	global_wb scope:SCOPE_SE
	s_wait_storecnt_dscnt 0x0
	s_barrier_signal -1
	s_barrier_wait -1
	global_inv scope:SCOPE_SE
	ds_load_b128 v[236:239], v34
	ds_load_b128 v[232:235], v34 offset:432
	ds_load_b128 v[184:187], v34 offset:4608
	;; [unrolled: 1-line block ×14, first 2 shown]
	s_and_saveexec_b32 s0, vcc_lo
	s_cbranch_execz .LBB0_13
; %bb.12:
	ds_load_b128 v[216:219], v34 offset:2160
	ds_load_b128 v[240:243], v34 offset:4464
	;; [unrolled: 1-line block ×3, first 2 shown]
.LBB0_13:
	s_wait_alu 0xfffe
	s_or_b32 exec_lo, exec_lo, s0
	s_clause 0x1
	global_load_b128 v[176:179], v[0:1], off offset:2256
	global_load_b128 v[180:183], v[0:1], off offset:2272
	v_lshlrev_b32_e32 v7, 5, v31
	v_lshlrev_b32_e32 v6, 5, v6
	s_wait_loadcnt_dscnt 0x104
	v_mul_f64_e32 v[0:1], v[190:191], v[178:179]
	s_wait_loadcnt 0x0
	v_mul_f64_e32 v[2:3], v[186:187], v[182:183]
	s_delay_alu instid0(VALU_DEP_2) | instskip(SKIP_1) | instid1(VALU_DEP_3)
	v_fma_f64 v[9:10], v[188:189], v[176:177], -v[0:1]
	v_mul_f64_e32 v[0:1], v[188:189], v[178:179]
	v_fma_f64 v[11:12], v[184:185], v[180:181], -v[2:3]
	v_mul_f64_e32 v[2:3], v[184:185], v[182:183]
	s_delay_alu instid0(VALU_DEP_3) | instskip(NEXT) | instid1(VALU_DEP_2)
	v_fma_f64 v[0:1], v[190:191], v[176:177], v[0:1]
	v_fma_f64 v[2:3], v[186:187], v[180:181], v[2:3]
	s_clause 0x1
	global_load_b128 v[184:187], v7, s[2:3] offset:2256
	global_load_b128 v[188:191], v7, s[2:3] offset:2272
	v_lshlrev_b32_e32 v7, 5, v30
	s_wait_loadcnt 0x1
	v_mul_f64_e32 v[13:14], v[198:199], v[186:187]
	s_wait_loadcnt 0x0
	v_mul_f64_e32 v[18:19], v[194:195], v[190:191]
	v_mul_f64_e32 v[20:21], v[192:193], v[190:191]
	s_delay_alu instid0(VALU_DEP_3) | instskip(SKIP_1) | instid1(VALU_DEP_4)
	v_fma_f64 v[16:17], v[196:197], v[184:185], -v[13:14]
	v_mul_f64_e32 v[13:14], v[196:197], v[186:187]
	v_fma_f64 v[18:19], v[192:193], v[188:189], -v[18:19]
	s_delay_alu instid0(VALU_DEP_4) | instskip(NEXT) | instid1(VALU_DEP_3)
	v_fma_f64 v[20:21], v[194:195], v[188:189], v[20:21]
	v_fma_f64 v[13:14], v[198:199], v[184:185], v[13:14]
	s_clause 0x1
	global_load_b128 v[192:195], v7, s[2:3] offset:2256
	global_load_b128 v[196:199], v7, s[2:3] offset:2272
	v_lshlrev_b32_e32 v7, 5, v8
	s_wait_loadcnt 0x1
	v_mul_f64_e32 v[22:23], v[202:203], v[194:195]
	s_delay_alu instid0(VALU_DEP_1) | instskip(SKIP_1) | instid1(VALU_DEP_1)
	v_fma_f64 v[30:31], v[200:201], v[192:193], -v[22:23]
	v_mul_f64_e32 v[22:23], v[200:201], v[194:195]
	v_fma_f64 v[24:25], v[202:203], v[192:193], v[22:23]
	s_wait_loadcnt 0x0
	v_mul_f64_e32 v[22:23], v[206:207], v[198:199]
	s_delay_alu instid0(VALU_DEP_1) | instskip(SKIP_1) | instid1(VALU_DEP_1)
	v_fma_f64 v[35:36], v[204:205], v[196:197], -v[22:23]
	v_mul_f64_e32 v[22:23], v[204:205], v[198:199]
	v_fma_f64 v[26:27], v[206:207], v[196:197], v[22:23]
	s_clause 0x1
	global_load_b128 v[200:203], v7, s[2:3] offset:2256
	global_load_b128 v[204:207], v7, s[2:3] offset:2272
	s_wait_loadcnt_dscnt 0x102
	v_mul_f64_e32 v[7:8], v[214:215], v[202:203]
	s_delay_alu instid0(VALU_DEP_1) | instskip(SKIP_1) | instid1(VALU_DEP_1)
	v_fma_f64 v[37:38], v[212:213], v[200:201], -v[7:8]
	v_mul_f64_e32 v[7:8], v[212:213], v[202:203]
	v_fma_f64 v[39:40], v[214:215], v[200:201], v[7:8]
	s_wait_loadcnt 0x0
	v_mul_f64_e32 v[7:8], v[210:211], v[206:207]
	s_delay_alu instid0(VALU_DEP_1) | instskip(SKIP_1) | instid1(VALU_DEP_1)
	v_fma_f64 v[41:42], v[208:209], v[204:205], -v[7:8]
	v_mul_f64_e32 v[7:8], v[208:209], v[206:207]
	v_fma_f64 v[43:44], v[210:211], v[204:205], v[7:8]
	s_clause 0x1
	global_load_b128 v[208:211], v6, s[2:3] offset:2256
	global_load_b128 v[212:215], v6, s[2:3] offset:2272
	s_wait_loadcnt_dscnt 0x101
	v_mul_f64_e32 v[6:7], v[166:167], v[210:211]
	s_delay_alu instid0(VALU_DEP_1) | instskip(SKIP_1) | instid1(VALU_DEP_1)
	v_fma_f64 v[45:46], v[164:165], v[208:209], -v[6:7]
	v_mul_f64_e32 v[6:7], v[164:165], v[210:211]
	v_fma_f64 v[47:48], v[166:167], v[208:209], v[6:7]
	s_wait_loadcnt_dscnt 0x0
	v_mul_f64_e32 v[6:7], v[162:163], v[214:215]
	s_delay_alu instid0(VALU_DEP_1) | instskip(SKIP_1) | instid1(VALU_DEP_1)
	v_fma_f64 v[49:50], v[160:161], v[212:213], -v[6:7]
	v_mul_f64_e32 v[6:7], v[160:161], v[214:215]
	v_fma_f64 v[51:52], v[162:163], v[212:213], v[6:7]
	v_add_co_u32 v6, s0, v32, -9
	s_wait_alu 0xf1ff
	v_add_co_ci_u32_e64 v7, null, 0, -1, s0
	s_delay_alu instid0(VALU_DEP_1) | instskip(NEXT) | instid1(VALU_DEP_1)
	v_dual_cndmask_b32 v4, v6, v4 :: v_dual_cndmask_b32 v5, v7, v5
	v_lshlrev_b64_e32 v[4:5], 5, v[4:5]
	s_delay_alu instid0(VALU_DEP_1) | instskip(SKIP_1) | instid1(VALU_DEP_2)
	v_add_co_u32 v4, s0, s2, v4
	s_wait_alu 0xf1ff
	v_add_co_ci_u32_e64 v5, s0, s3, v5, s0
	s_clause 0x1
	global_load_b128 v[160:163], v[4:5], off offset:2256
	global_load_b128 v[164:167], v[4:5], off offset:2272
	s_mov_b32 s0, 0xe8584caa
	s_mov_b32 s1, 0x3febb67a
	;; [unrolled: 1-line block ×3, first 2 shown]
	s_wait_alu 0xfffe
	s_mov_b32 s2, s0
	s_wait_loadcnt 0x1
	v_mul_f64_e32 v[4:5], v[242:243], v[162:163]
	scratch_store_b128 off, v[160:163], off offset:304 ; 16-byte Folded Spill
	s_wait_loadcnt 0x0
	scratch_store_b128 off, v[164:167], off offset:320 ; 16-byte Folded Spill
	v_fma_f64 v[53:54], v[240:241], v[160:161], -v[4:5]
	v_mul_f64_e32 v[4:5], v[240:241], v[162:163]
	v_add_f64_e32 v[162:163], v[236:237], v[9:10]
	s_delay_alu instid0(VALU_DEP_2) | instskip(SKIP_1) | instid1(VALU_DEP_1)
	v_fma_f64 v[55:56], v[242:243], v[160:161], v[4:5]
	v_mul_f64_e32 v[4:5], v[246:247], v[166:167]
	v_fma_f64 v[58:59], v[244:245], v[164:165], -v[4:5]
	v_mul_f64_e32 v[4:5], v[244:245], v[166:167]
	s_delay_alu instid0(VALU_DEP_1) | instskip(SKIP_1) | instid1(VALU_DEP_1)
	v_fma_f64 v[160:161], v[246:247], v[164:165], v[4:5]
	v_add_f64_e32 v[4:5], v[9:10], v[11:12]
	v_fma_f64 v[6:7], v[4:5], -0.5, v[236:237]
	v_add_f64_e32 v[4:5], v[0:1], v[2:3]
	v_add_f64_e64 v[236:237], v[0:1], -v[2:3]
	s_delay_alu instid0(VALU_DEP_2)
	v_fma_f64 v[22:23], v[4:5], -0.5, v[238:239]
	v_add_f64_e32 v[4:5], v[238:239], v[0:1]
	v_add_f64_e32 v[0:1], v[162:163], v[11:12]
	v_add_f64_e64 v[10:11], v[9:10], -v[11:12]
	s_wait_alu 0xfffe
	v_fma_f64 v[8:9], v[236:237], s[2:3], v[6:7]
	v_add_f64_e32 v[162:163], v[13:14], v[20:21]
	v_add_f64_e32 v[2:3], v[4:5], v[2:3]
	v_fma_f64 v[4:5], v[236:237], s[0:1], v[6:7]
	v_fma_f64 v[6:7], v[10:11], s[2:3], v[22:23]
	;; [unrolled: 1-line block ×3, first 2 shown]
	v_add_f64_e32 v[22:23], v[16:17], v[18:19]
	v_fma_f64 v[162:163], v[162:163], -0.5, v[234:235]
	v_add_f64_e32 v[234:235], v[234:235], v[13:14]
	v_add_f64_e64 v[236:237], v[13:14], -v[20:21]
	s_delay_alu instid0(VALU_DEP_4) | instskip(SKIP_1) | instid1(VALU_DEP_4)
	v_fma_f64 v[22:23], v[22:23], -0.5, v[232:233]
	v_add_f64_e32 v[232:233], v[232:233], v[16:17]
	v_add_f64_e32 v[14:15], v[234:235], v[20:21]
	s_delay_alu instid0(VALU_DEP_3) | instskip(NEXT) | instid1(VALU_DEP_3)
	v_fma_f64 v[20:21], v[236:237], s[2:3], v[22:23]
	v_add_f64_e32 v[12:13], v[232:233], v[18:19]
	v_add_f64_e64 v[232:233], v[16:17], -v[18:19]
	v_fma_f64 v[16:17], v[236:237], s[0:1], v[22:23]
	s_delay_alu instid0(VALU_DEP_2) | instskip(SKIP_3) | instid1(VALU_DEP_2)
	v_fma_f64 v[18:19], v[232:233], s[2:3], v[162:163]
	v_fma_f64 v[22:23], v[232:233], s[0:1], v[162:163]
	v_add_f64_e32 v[162:163], v[30:31], v[35:36]
	v_add_f64_e32 v[232:233], v[24:25], v[26:27]
	v_fma_f64 v[162:163], v[162:163], -0.5, v[228:229]
	s_delay_alu instid0(VALU_DEP_2) | instskip(SKIP_4) | instid1(VALU_DEP_4)
	v_fma_f64 v[234:235], v[232:233], -0.5, v[230:231]
	v_add_f64_e32 v[230:231], v[230:231], v[24:25]
	v_add_f64_e32 v[228:229], v[228:229], v[30:31]
	v_add_f64_e64 v[30:31], v[30:31], -v[35:36]
	v_add_f64_e64 v[232:233], v[24:25], -v[26:27]
	v_add_f64_e32 v[26:27], v[230:231], v[26:27]
	s_delay_alu instid0(VALU_DEP_4) | instskip(NEXT) | instid1(VALU_DEP_4)
	v_add_f64_e32 v[24:25], v[228:229], v[35:36]
	v_fma_f64 v[230:231], v[30:31], s[2:3], v[234:235]
	v_fma_f64 v[234:235], v[30:31], s[0:1], v[234:235]
	v_add_f64_e32 v[30:31], v[37:38], v[41:42]
	v_add_f64_e32 v[35:36], v[39:40], v[43:44]
	v_fma_f64 v[228:229], v[232:233], s[0:1], v[162:163]
	v_fma_f64 v[232:233], v[232:233], s[2:3], v[162:163]
	v_add_f64_e32 v[162:163], v[226:227], v[39:40]
	v_add_f64_e64 v[39:40], v[39:40], -v[43:44]
	v_fma_f64 v[30:31], v[30:31], -0.5, v[224:225]
	v_fma_f64 v[35:36], v[35:36], -0.5, v[226:227]
	v_add_f64_e32 v[224:225], v[224:225], v[37:38]
	v_add_f64_e64 v[37:38], v[37:38], -v[41:42]
	v_add_f64_e32 v[238:239], v[162:163], v[43:44]
	v_add_f64_e32 v[43:44], v[216:217], v[53:54]
	v_fma_f64 v[240:241], v[39:40], s[0:1], v[30:31]
	v_fma_f64 v[244:245], v[39:40], s[2:3], v[30:31]
	v_add_f64_e32 v[30:31], v[45:46], v[49:50]
	v_fma_f64 v[242:243], v[37:38], s[2:3], v[35:36]
	v_fma_f64 v[246:247], v[37:38], s[0:1], v[35:36]
	v_add_f64_e32 v[35:36], v[47:48], v[51:52]
	v_add_f64_e32 v[39:40], v[220:221], v[45:46]
	;; [unrolled: 1-line block ×3, first 2 shown]
	v_add_f64_e64 v[41:42], v[47:48], -v[51:52]
	v_fma_f64 v[30:31], v[30:31], -0.5, v[220:221]
	v_fma_f64 v[37:38], v[35:36], -0.5, v[222:223]
	v_add_f64_e32 v[35:36], v[222:223], v[47:48]
	v_add_f64_e32 v[248:249], v[39:40], v[49:50]
	v_add_f64_e64 v[39:40], v[45:46], -v[49:50]
	v_add_f64_e64 v[45:46], v[55:56], -v[160:161]
	v_fma_f64 v[252:253], v[41:42], s[0:1], v[30:31]
	v_add_f64_e32 v[250:251], v[35:36], v[51:52]
	v_fma_f64 v[35:36], v[41:42], s[2:3], v[30:31]
	v_fma_f64 v[254:255], v[39:40], s[2:3], v[37:38]
	;; [unrolled: 1-line block ×3, first 2 shown]
	v_add_f64_e32 v[30:31], v[53:54], v[58:59]
	v_add_f64_e32 v[39:40], v[55:56], v[160:161]
	;; [unrolled: 1-line block ×3, first 2 shown]
	ds_store_b128 v34, v[0:3]
	ds_store_b128 v34, v[12:15] offset:432
	ds_store_b128 v34, v[16:19] offset:2736
	;; [unrolled: 1-line block ×11, first 2 shown]
	v_lshl_add_u32 v0, v29, 4, v28
	ds_store_b128 v34, v[244:247] offset:5904
	ds_store_b128 v0, v[252:255] offset:4032
	scratch_store_b32 off, v0, off offset:296 ; 4-byte Folded Spill
	ds_store_b128 v0, v[35:38] offset:6336
	v_fma_f64 v[30:31], v[30:31], -0.5, v[216:217]
	v_fma_f64 v[39:40], v[39:40], -0.5, v[218:219]
	v_add_f64_e32 v[218:219], v[41:42], v[160:161]
	v_add_f64_e64 v[41:42], v[53:54], -v[58:59]
	v_add_f64_e32 v[216:217], v[43:44], v[58:59]
	v_fma_f64 v[220:221], v[45:46], s[0:1], v[30:31]
	v_fma_f64 v[224:225], v[45:46], s[2:3], v[30:31]
	s_delay_alu instid0(VALU_DEP_4)
	v_fma_f64 v[222:223], v[41:42], s[2:3], v[39:40]
	v_fma_f64 v[226:227], v[41:42], s[0:1], v[39:40]
	s_and_saveexec_b32 s0, vcc_lo
	s_cbranch_execz .LBB0_15
; %bb.14:
	ds_store_b128 v34, v[216:219] offset:2160
	ds_store_b128 v34, v[220:223] offset:4464
	;; [unrolled: 1-line block ×3, first 2 shown]
.LBB0_15:
	s_wait_alu 0xfffe
	s_or_b32 exec_lo, exec_lo, s0
	global_wb scope:SCOPE_SE
	s_wait_storecnt_dscnt 0x0
	s_barrier_signal -1
	s_barrier_wait -1
	global_inv scope:SCOPE_SE
	scratch_load_b64 v[0:1], off, off       ; 8-byte Folded Reload
	s_add_nc_u64 s[0:1], s[12:13], 0x1b00
	s_wait_loadcnt 0x0
	global_load_b128 v[1:4], v[0:1], off offset:6912
	v_lshlrev_b32_e32 v0, 4, v32
	s_clause 0x1
	global_load_b128 v[5:8], v0, s[0:1] offset:2304
	global_load_b128 v[9:12], v0, s[0:1] offset:4608
	ds_load_b128 v[13:16], v34
	ds_load_b128 v[17:20], v34 offset:432
	ds_load_b128 v[21:24], v34 offset:2304
	;; [unrolled: 1-line block ×3, first 2 shown]
	s_clause 0x1
	global_load_b128 v[35:38], v0, s[0:1] offset:2736
	global_load_b128 v[228:231], v0, s[0:1] offset:4032
	s_wait_loadcnt_dscnt 0x403
	v_mul_f64_e32 v[29:30], v[15:16], v[3:4]
	v_mul_f64_e32 v[3:4], v[13:14], v[3:4]
	s_delay_alu instid0(VALU_DEP_2) | instskip(SKIP_3) | instid1(VALU_DEP_4)
	v_fma_f64 v[13:14], v[13:14], v[1:2], -v[29:30]
	s_wait_loadcnt_dscnt 0x301
	v_mul_f64_e32 v[29:30], v[23:24], v[7:8]
	v_mul_f64_e32 v[7:8], v[21:22], v[7:8]
	v_fma_f64 v[15:16], v[15:16], v[1:2], v[3:4]
	ds_load_b128 v[1:4], v34 offset:4608
	v_fma_f64 v[21:22], v[21:22], v[5:6], -v[29:30]
	v_fma_f64 v[23:24], v[23:24], v[5:6], v[7:8]
	ds_load_b128 v[5:8], v34 offset:5040
	s_wait_loadcnt_dscnt 0x201
	v_mul_f64_e32 v[29:30], v[3:4], v[11:12]
	v_mul_f64_e32 v[11:12], v[1:2], v[11:12]
	s_delay_alu instid0(VALU_DEP_2) | instskip(NEXT) | instid1(VALU_DEP_2)
	v_fma_f64 v[1:2], v[1:2], v[9:10], -v[29:30]
	v_fma_f64 v[3:4], v[3:4], v[9:10], v[11:12]
	s_clause 0x1
	global_load_b128 v[9:12], v0, s[0:1] offset:432
	global_load_b128 v[232:235], v0, s[0:1] offset:864
	s_wait_loadcnt 0x1
	v_mul_f64_e32 v[29:30], v[19:20], v[11:12]
	v_mul_f64_e32 v[11:12], v[17:18], v[11:12]
	s_delay_alu instid0(VALU_DEP_2) | instskip(NEXT) | instid1(VALU_DEP_2)
	v_fma_f64 v[17:18], v[17:18], v[9:10], -v[29:30]
	v_fma_f64 v[19:20], v[19:20], v[9:10], v[11:12]
	ds_load_b128 v[9:12], v34 offset:2736
	ds_load_b128 v[236:239], v34 offset:3168
	s_wait_dscnt 0x1
	v_mul_f64_e32 v[29:30], v[11:12], v[37:38]
	v_mul_f64_e32 v[37:38], v[9:10], v[37:38]
	s_delay_alu instid0(VALU_DEP_2) | instskip(NEXT) | instid1(VALU_DEP_2)
	v_fma_f64 v[9:10], v[9:10], v[35:36], -v[29:30]
	v_fma_f64 v[11:12], v[11:12], v[35:36], v[37:38]
	s_clause 0x1
	global_load_b128 v[35:38], v0, s[0:1] offset:5040
	global_load_b128 v[240:243], v0, s[0:1] offset:5472
	s_wait_loadcnt 0x1
	v_mul_f64_e32 v[29:30], v[7:8], v[37:38]
	v_mul_f64_e32 v[37:38], v[5:6], v[37:38]
	s_delay_alu instid0(VALU_DEP_2) | instskip(NEXT) | instid1(VALU_DEP_2)
	v_fma_f64 v[5:6], v[5:6], v[35:36], -v[29:30]
	v_fma_f64 v[7:8], v[7:8], v[35:36], v[37:38]
	ds_load_b128 v[35:38], v34 offset:864
	ds_load_b128 v[244:247], v34 offset:1296
	s_wait_dscnt 0x1
	;; [unrolled: 17-line block ×4, first 2 shown]
	v_mul_f64_e32 v[29:30], v[254:255], v[250:251]
	v_mul_f64_e32 v[51:52], v[252:253], v[250:251]
	s_delay_alu instid0(VALU_DEP_2) | instskip(NEXT) | instid1(VALU_DEP_2)
	v_fma_f64 v[246:247], v[252:253], v[248:249], -v[29:30]
	v_fma_f64 v[248:249], v[254:255], v[248:249], v[51:52]
	s_clause 0x1
	global_load_b128 v[250:253], v0, s[0:1] offset:5904
	global_load_b128 v[51:54], v0, s[0:1] offset:6336
	s_wait_loadcnt 0x1
	v_mul_f64_e32 v[29:30], v[41:42], v[252:253]
	v_mul_f64_e32 v[55:56], v[39:40], v[252:253]
	s_delay_alu instid0(VALU_DEP_2) | instskip(SKIP_2) | instid1(VALU_DEP_4)
	v_fma_f64 v[39:40], v[39:40], v[250:251], -v[29:30]
	v_mul_f64_e32 v[29:30], v[27:28], v[45:46]
	v_mul_f64_e32 v[45:46], v[25:26], v[45:46]
	v_fma_f64 v[41:42], v[41:42], v[250:251], v[55:56]
	s_delay_alu instid0(VALU_DEP_3) | instskip(NEXT) | instid1(VALU_DEP_3)
	v_fma_f64 v[25:26], v[25:26], v[43:44], -v[29:30]
	v_fma_f64 v[27:28], v[27:28], v[43:44], v[45:46]
	s_wait_dscnt 0x0
	v_mul_f64_e32 v[29:30], v[49:50], v[230:231]
	v_mul_f64_e32 v[45:46], v[47:48], v[230:231]
	s_delay_alu instid0(VALU_DEP_2) | instskip(NEXT) | instid1(VALU_DEP_2)
	v_fma_f64 v[43:44], v[47:48], v[228:229], -v[29:30]
	v_fma_f64 v[45:46], v[49:50], v[228:229], v[45:46]
	ds_load_b128 v[47:50], v34 offset:6336
	s_wait_loadcnt_dscnt 0x0
	v_mul_f64_e32 v[29:30], v[49:50], v[53:54]
	v_mul_f64_e32 v[53:54], v[47:48], v[53:54]
	s_delay_alu instid0(VALU_DEP_2) | instskip(NEXT) | instid1(VALU_DEP_2)
	v_fma_f64 v[47:48], v[47:48], v[51:52], -v[29:30]
	v_fma_f64 v[49:50], v[49:50], v[51:52], v[53:54]
	ds_store_b128 v34, v[13:16]
	ds_store_b128 v34, v[17:20] offset:432
	ds_store_b128 v34, v[1:4] offset:4608
	;; [unrolled: 1-line block ×14, first 2 shown]
	s_and_saveexec_b32 s2, vcc_lo
	s_cbranch_execz .LBB0_17
; %bb.16:
	s_wait_alu 0xfffe
	v_add_co_u32 v8, s0, s0, v0
	s_wait_alu 0xf1ff
	v_add_co_ci_u32_e64 v9, null, s1, 0, s0
	s_clause 0x2
	global_load_b128 v[0:3], v[8:9], off offset:2160
	global_load_b128 v[4:7], v[8:9], off offset:4464
	;; [unrolled: 1-line block ×3, first 2 shown]
	ds_load_b128 v[12:15], v34 offset:2160
	ds_load_b128 v[16:19], v34 offset:4464
	;; [unrolled: 1-line block ×3, first 2 shown]
	s_wait_loadcnt_dscnt 0x202
	v_mul_f64_e32 v[24:25], v[14:15], v[2:3]
	v_mul_f64_e32 v[2:3], v[12:13], v[2:3]
	s_wait_loadcnt_dscnt 0x101
	v_mul_f64_e32 v[26:27], v[18:19], v[6:7]
	v_mul_f64_e32 v[6:7], v[16:17], v[6:7]
	s_wait_loadcnt_dscnt 0x0
	v_mul_f64_e32 v[28:29], v[22:23], v[10:11]
	v_mul_f64_e32 v[30:31], v[20:21], v[10:11]
	v_fma_f64 v[10:11], v[12:13], v[0:1], -v[24:25]
	v_fma_f64 v[12:13], v[14:15], v[0:1], v[2:3]
	v_fma_f64 v[0:1], v[16:17], v[4:5], -v[26:27]
	v_fma_f64 v[2:3], v[18:19], v[4:5], v[6:7]
	;; [unrolled: 2-line block ×3, first 2 shown]
	ds_store_b128 v34, v[10:13] offset:2160
	ds_store_b128 v34, v[0:3] offset:4464
	;; [unrolled: 1-line block ×3, first 2 shown]
.LBB0_17:
	s_wait_alu 0xfffe
	s_or_b32 exec_lo, exec_lo, s2
	global_wb scope:SCOPE_SE
	s_wait_dscnt 0x0
	s_barrier_signal -1
	s_barrier_wait -1
	global_inv scope:SCOPE_SE
	ds_load_b128 v[244:247], v34
	ds_load_b128 v[240:243], v34 offset:432
	ds_load_b128 v[24:27], v34 offset:4608
	;; [unrolled: 1-line block ×14, first 2 shown]
	s_and_saveexec_b32 s0, vcc_lo
	s_cbranch_execz .LBB0_19
; %bb.18:
	ds_load_b128 v[216:219], v34 offset:2160
	ds_load_b128 v[220:223], v34 offset:4464
	;; [unrolled: 1-line block ×3, first 2 shown]
.LBB0_19:
	s_wait_alu 0xfffe
	s_or_b32 exec_lo, exec_lo, s0
	s_wait_dscnt 0x4
	v_add_f64_e32 v[37:38], v[246:247], v[30:31]
	v_add_f64_e32 v[35:36], v[244:245], v[28:29]
	;; [unrolled: 1-line block ×3, first 2 shown]
	v_add_f64_e64 v[30:31], v[30:31], -v[26:27]
	v_add_f64_e32 v[45:46], v[22:23], v[18:19]
	v_add_f64_e64 v[47:48], v[22:23], -v[18:19]
	v_add_f64_e32 v[39:40], v[28:29], v[24:25]
	;; [unrolled: 2-line block ×3, first 2 shown]
	v_add_f64_e64 v[49:50], v[20:21], -v[16:17]
	v_add_f64_e64 v[51:52], v[6:7], -v[14:15]
	;; [unrolled: 1-line block ×3, first 2 shown]
	s_wait_dscnt 0x2
	v_add_f64_e32 v[58:59], v[10:11], v[2:3]
	v_add_f64_e64 v[160:161], v[10:11], -v[2:3]
	s_mov_b32 s0, 0xe8584caa
	s_mov_b32 s1, 0xbfebb67a
	s_mov_b32 s3, 0x3febb67a
	s_wait_alu 0xfffe
	s_mov_b32 s2, s0
	v_add_f64_e32 v[55:56], v[8:9], v[0:1]
	v_add_f64_e64 v[162:163], v[8:9], -v[0:1]
	global_wb scope:SCOPE_SE
	s_wait_dscnt 0x0
	s_barrier_signal -1
	s_barrier_wait -1
	global_inv scope:SCOPE_SE
	v_add_f64_e32 v[164:165], v[252:253], v[248:249]
	v_add_f64_e32 v[166:167], v[254:255], v[250:251]
	;; [unrolled: 1-line block ×16, first 2 shown]
	v_fma_f64 v[22:23], v[41:42], -0.5, v[246:247]
	v_add_f64_e32 v[8:9], v[232:233], v[252:253]
	v_add_f64_e32 v[10:11], v[234:235], v[254:255]
	v_add_f64_e64 v[254:255], v[254:255], -v[250:251]
	v_add_f64_e64 v[252:253], v[252:253], -v[248:249]
	v_add_f64_e32 v[2:3], v[14:15], v[2:3]
	v_fma_f64 v[14:15], v[39:40], -0.5, v[244:245]
	v_add_f64_e32 v[0:1], v[12:13], v[0:1]
	v_add_f64_e32 v[8:9], v[8:9], v[248:249]
	;; [unrolled: 1-line block ×3, first 2 shown]
	s_delay_alu instid0(VALU_DEP_4)
	v_fma_f64 v[12:13], v[30:31], s[0:1], v[14:15]
	s_wait_alu 0xfffe
	v_fma_f64 v[20:21], v[30:31], s[2:3], v[14:15]
	v_fma_f64 v[14:15], v[28:29], s[2:3], v[22:23]
	v_fma_f64 v[22:23], v[28:29], s[0:1], v[22:23]
	scratch_load_b32 v28, off, off offset:272 th:TH_LOAD_LU ; 4-byte Folded Reload
	s_wait_loadcnt 0x0
	ds_store_b128 v28, v[24:27]
	ds_store_b128 v28, v[12:15] offset:16
	ds_store_b128 v28, v[20:23] offset:32
	scratch_load_b32 v24, off, off offset:268 th:TH_LOAD_LU ; 4-byte Folded Reload
	v_fma_f64 v[14:15], v[43:44], -0.5, v[240:241]
	v_fma_f64 v[22:23], v[45:46], -0.5, v[242:243]
	;; [unrolled: 1-line block ×3, first 2 shown]
	s_delay_alu instid0(VALU_DEP_3) | instskip(SKIP_1) | instid1(VALU_DEP_4)
	v_fma_f64 v[12:13], v[47:48], s[0:1], v[14:15]
	v_fma_f64 v[20:21], v[47:48], s[2:3], v[14:15]
	;; [unrolled: 1-line block ×4, first 2 shown]
	s_wait_loadcnt 0x0
	ds_store_b128 v24, v[16:19]
	ds_store_b128 v24, v[12:15] offset:16
	ds_store_b128 v24, v[20:23] offset:32
	scratch_load_b32 v28, off, off offset:264 th:TH_LOAD_LU ; 4-byte Folded Reload
	v_fma_f64 v[14:15], v[35:36], -0.5, v[236:237]
	v_fma_f64 v[18:19], v[37:38], -0.5, v[238:239]
	;; [unrolled: 1-line block ×5, first 2 shown]
	v_fma_f64 v[12:13], v[51:52], s[0:1], v[14:15]
	v_fma_f64 v[16:17], v[51:52], s[2:3], v[14:15]
	v_fma_f64 v[14:15], v[53:54], s[2:3], v[18:19]
	v_fma_f64 v[18:19], v[53:54], s[0:1], v[18:19]
	s_wait_loadcnt 0x0
	ds_store_b128 v28, v[4:7]
	ds_store_b128 v28, v[12:15] offset:16
	ds_store_b128 v28, v[16:19] offset:32
	v_add_f64_e32 v[28:29], v[220:221], v[224:225]
	v_fma_f64 v[4:5], v[160:161], s[0:1], v[20:21]
	v_fma_f64 v[6:7], v[162:163], s[2:3], v[22:23]
	;; [unrolled: 1-line block ×8, first 2 shown]
	v_add_f64_e32 v[24:25], v[222:223], v[226:227]
	v_add_f64_e64 v[26:27], v[222:223], -v[226:227]
	v_fma_f64 v[28:29], v[28:29], -0.5, v[216:217]
	s_delay_alu instid0(VALU_DEP_3) | instskip(NEXT) | instid1(VALU_DEP_2)
	v_fma_f64 v[24:25], v[24:25], -0.5, v[218:219]
	v_fma_f64 v[228:229], v[26:27], s[0:1], v[28:29]
	v_fma_f64 v[232:233], v[26:27], s[2:3], v[28:29]
	v_add_f64_e64 v[26:27], v[220:221], -v[224:225]
	s_delay_alu instid0(VALU_DEP_1)
	v_fma_f64 v[230:231], v[26:27], s[2:3], v[24:25]
	v_fma_f64 v[234:235], v[26:27], s[0:1], v[24:25]
	scratch_load_b32 v24, off, off offset:260 th:TH_LOAD_LU ; 4-byte Folded Reload
	s_wait_loadcnt 0x0
	ds_store_b128 v24, v[0:3]
	ds_store_b128 v24, v[4:7] offset:16
	ds_store_b128 v24, v[12:15] offset:32
	scratch_load_b32 v0, off, off offset:256 th:TH_LOAD_LU ; 4-byte Folded Reload
	s_wait_loadcnt 0x0
	ds_store_b128 v0, v[8:11]
	ds_store_b128 v0, v[16:19] offset:16
	ds_store_b128 v0, v[20:23] offset:32
	s_and_saveexec_b32 s0, vcc_lo
	s_cbranch_execz .LBB0_21
; %bb.20:
	v_add_f64_e32 v[0:1], v[218:219], v[222:223]
	v_add_f64_e32 v[4:5], v[216:217], v[220:221]
	s_delay_alu instid0(VALU_DEP_2) | instskip(NEXT) | instid1(VALU_DEP_2)
	v_add_f64_e32 v[2:3], v[0:1], v[226:227]
	v_add_f64_e32 v[0:1], v[4:5], v[224:225]
	scratch_load_b32 v4, off, off offset:300 th:TH_LOAD_LU ; 4-byte Folded Reload
	s_wait_loadcnt 0x0
	v_lshl_add_u32 v4, v4, 4, v57
	ds_store_b128 v4, v[0:3]
	ds_store_b128 v4, v[228:231] offset:16
	ds_store_b128 v4, v[232:235] offset:32
.LBB0_21:
	s_wait_alu 0xfffe
	s_or_b32 exec_lo, exec_lo, s0
	global_wb scope:SCOPE_SE
	s_wait_dscnt 0x0
	s_barrier_signal -1
	s_barrier_wait -1
	global_inv scope:SCOPE_SE
	ds_load_b128 v[0:3], v34 offset:432
	ds_load_b128 v[4:7], v34
	s_mov_b32 s0, 0x667f3bcd
	s_mov_b32 s1, 0xbfe6a09e
	s_mov_b32 s3, 0x3fe6a09e
	s_wait_alu 0xfffe
	s_mov_b32 s2, s0
	s_mov_b32 s10, 0xcf328d46
	s_mov_b32 s11, 0xbfed906b
	s_mov_b32 s17, 0x3fed906b
	s_wait_alu 0xfffe
	s_mov_b32 s16, s10
	;; [unrolled: 5-line block ×3, first 2 shown]
	s_wait_dscnt 0x1
	v_mul_f64_e32 v[8:9], v[70:71], v[2:3]
	s_delay_alu instid0(VALU_DEP_1) | instskip(SKIP_1) | instid1(VALU_DEP_1)
	v_fma_f64 v[24:25], v[68:69], v[0:1], v[8:9]
	v_mul_f64_e32 v[0:1], v[70:71], v[0:1]
	v_fma_f64 v[26:27], v[68:69], v[2:3], -v[0:1]
	ds_load_b128 v[0:3], v34 offset:864
	ds_load_b128 v[8:11], v34 offset:1296
	s_wait_dscnt 0x1
	v_mul_f64_e32 v[12:13], v[66:67], v[2:3]
	s_delay_alu instid0(VALU_DEP_1) | instskip(SKIP_1) | instid1(VALU_DEP_1)
	v_fma_f64 v[28:29], v[64:65], v[0:1], v[12:13]
	v_mul_f64_e32 v[0:1], v[66:67], v[0:1]
	v_fma_f64 v[30:31], v[64:65], v[2:3], -v[0:1]
	s_wait_dscnt 0x0
	v_mul_f64_e32 v[0:1], v[62:63], v[10:11]
	s_delay_alu instid0(VALU_DEP_1) | instskip(SKIP_1) | instid1(VALU_DEP_1)
	v_fma_f64 v[35:36], v[60:61], v[8:9], v[0:1]
	v_mul_f64_e32 v[0:1], v[62:63], v[8:9]
	v_fma_f64 v[37:38], v[60:61], v[10:11], -v[0:1]
	ds_load_b128 v[0:3], v34 offset:1728
	ds_load_b128 v[8:11], v34 offset:2160
	s_wait_dscnt 0x1
	v_mul_f64_e32 v[12:13], v[74:75], v[2:3]
	s_delay_alu instid0(VALU_DEP_1) | instskip(SKIP_1) | instid1(VALU_DEP_1)
	v_fma_f64 v[39:40], v[72:73], v[0:1], v[12:13]
	v_mul_f64_e32 v[0:1], v[74:75], v[0:1]
	v_fma_f64 v[41:42], v[72:73], v[2:3], -v[0:1]
	;; [unrolled: 14-line block ×4, first 2 shown]
	ds_load_b128 v[0:3], v34 offset:5184
	ds_load_b128 v[12:15], v34 offset:5616
	s_wait_dscnt 0x1
	v_mul_f64_e32 v[16:17], v[106:107], v[2:3]
	s_delay_alu instid0(VALU_DEP_1) | instskip(SKIP_1) | instid1(VALU_DEP_2)
	v_fma_f64 v[60:61], v[104:105], v[0:1], v[16:17]
	v_mul_f64_e32 v[0:1], v[106:107], v[0:1]
	v_add_f64_e64 v[60:61], v[39:40], -v[60:61]
	s_delay_alu instid0(VALU_DEP_2)
	v_fma_f64 v[62:63], v[104:105], v[2:3], -v[0:1]
	ds_load_b128 v[0:3], v34 offset:4320
	ds_load_b128 v[16:19], v34 offset:4752
	s_wait_dscnt 0x1
	v_mul_f64_e32 v[20:21], v[110:111], v[2:3]
	v_add_f64_e64 v[62:63], v[41:42], -v[62:63]
	s_delay_alu instid0(VALU_DEP_2) | instskip(SKIP_1) | instid1(VALU_DEP_2)
	v_fma_f64 v[64:65], v[108:109], v[0:1], v[20:21]
	v_mul_f64_e32 v[0:1], v[110:111], v[0:1]
	v_add_f64_e64 v[64:65], v[28:29], -v[64:65]
	s_delay_alu instid0(VALU_DEP_2)
	v_fma_f64 v[66:67], v[108:109], v[2:3], -v[0:1]
	ds_load_b128 v[0:3], v34 offset:6048
	ds_load_b128 v[20:23], v34 offset:6480
	global_wb scope:SCOPE_SE
	s_wait_dscnt 0x0
	s_barrier_signal -1
	s_barrier_wait -1
	global_inv scope:SCOPE_SE
	v_mul_f64_e32 v[68:69], v[114:115], v[2:3]
	v_add_f64_e64 v[66:67], v[30:31], -v[66:67]
	s_delay_alu instid0(VALU_DEP_2) | instskip(SKIP_1) | instid1(VALU_DEP_2)
	v_fma_f64 v[68:69], v[112:113], v[0:1], v[68:69]
	v_mul_f64_e32 v[0:1], v[114:115], v[0:1]
	v_add_f64_e64 v[68:69], v[47:48], -v[68:69]
	s_delay_alu instid0(VALU_DEP_2) | instskip(SKIP_1) | instid1(VALU_DEP_2)
	v_fma_f64 v[0:1], v[112:113], v[2:3], -v[0:1]
	v_mul_f64_e32 v[2:3], v[90:91], v[10:11]
	v_add_f64_e64 v[72:73], v[49:50], -v[0:1]
	s_delay_alu instid0(VALU_DEP_2) | instskip(SKIP_2) | instid1(VALU_DEP_3)
	v_fma_f64 v[2:3], v[88:89], v[8:9], v[2:3]
	v_mul_f64_e32 v[8:9], v[90:91], v[8:9]
	v_fma_f64 v[0:1], v[39:40], 2.0, -v[60:61]
	v_add_f64_e64 v[74:75], v[24:25], -v[2:3]
	s_delay_alu instid0(VALU_DEP_3) | instskip(SKIP_2) | instid1(VALU_DEP_4)
	v_fma_f64 v[8:9], v[88:89], v[10:11], -v[8:9]
	v_mul_f64_e32 v[10:11], v[94:95], v[14:15]
	v_fma_f64 v[2:3], v[41:42], 2.0, -v[62:63]
	v_fma_f64 v[24:25], v[24:25], 2.0, -v[74:75]
	s_delay_alu instid0(VALU_DEP_3) | instskip(SKIP_1) | instid1(VALU_DEP_1)
	v_fma_f64 v[10:11], v[92:93], v[12:13], v[10:11]
	v_mul_f64_e32 v[12:13], v[94:95], v[12:13]
	v_fma_f64 v[12:13], v[92:93], v[14:15], -v[12:13]
	v_mul_f64_e32 v[14:15], v[78:79], v[18:19]
	s_delay_alu instid0(VALU_DEP_1) | instskip(SKIP_1) | instid1(VALU_DEP_1)
	v_fma_f64 v[14:15], v[76:77], v[16:17], v[14:15]
	v_mul_f64_e32 v[16:17], v[78:79], v[16:17]
	v_fma_f64 v[16:17], v[76:77], v[18:19], -v[16:17]
	v_mul_f64_e32 v[18:19], v[118:119], v[20:21]
	v_add_f64_e64 v[76:77], v[26:27], -v[8:9]
	v_add_f64_e64 v[8:9], v[43:44], -v[10:11]
	;; [unrolled: 1-line block ×5, first 2 shown]
	v_fma_f64 v[18:19], v[116:117], v[22:23], -v[18:19]
	v_mul_f64_e32 v[22:23], v[118:119], v[22:23]
	v_fma_f64 v[26:27], v[26:27], 2.0, -v[76:77]
	v_fma_f64 v[39:40], v[45:46], 2.0, -v[10:11]
	v_fma_f64 v[35:36], v[35:36], 2.0, -v[12:13]
	v_add_f64_e64 v[90:91], v[76:77], -v[8:9]
	v_add_f64_e32 v[88:89], v[74:75], v[10:11]
	v_fma_f64 v[37:38], v[37:38], 2.0, -v[14:15]
	v_add_f64_e64 v[16:17], v[53:54], -v[18:19]
	v_fma_f64 v[20:21], v[116:117], v[20:21], v[22:23]
	v_add_f64_e64 v[22:23], v[4:5], -v[55:56]
	v_add_f64_e64 v[55:56], v[6:7], -v[58:59]
	;; [unrolled: 1-line block ×3, first 2 shown]
	v_fma_f64 v[74:75], v[74:75], 2.0, -v[88:89]
	v_fma_f64 v[41:42], v[53:54], 2.0, -v[16:17]
	v_add_f64_e64 v[18:19], v[51:52], -v[20:21]
	v_fma_f64 v[58:59], v[4:5], 2.0, -v[22:23]
	v_fma_f64 v[70:71], v[6:7], 2.0, -v[55:56]
	;; [unrolled: 1-line block ×7, first 2 shown]
	v_add_f64_e32 v[72:73], v[64:65], v[72:73]
	v_add_f64_e64 v[68:69], v[66:67], -v[68:69]
	v_add_f64_e32 v[16:17], v[12:13], v[16:17]
	v_add_f64_e64 v[41:42], v[37:38], -v[41:42]
	v_fma_f64 v[43:44], v[51:52], 2.0, -v[18:19]
	v_add_f64_e64 v[45:46], v[58:59], -v[0:1]
	v_add_f64_e64 v[47:48], v[70:71], -v[2:3]
	;; [unrolled: 1-line block ×6, first 2 shown]
	v_fma_f64 v[12:13], v[12:13], 2.0, -v[16:17]
	v_add_f64_e64 v[43:44], v[35:36], -v[43:44]
	v_fma_f64 v[10:11], v[18:19], s[2:3], v[90:91]
	v_fma_f64 v[14:15], v[14:15], 2.0, -v[18:19]
	v_add_f64_e64 v[78:79], v[47:48], -v[49:50]
	v_add_f64_e32 v[4:5], v[30:31], v[41:42]
	v_add_f64_e32 v[53:54], v[45:46], v[51:52]
	v_add_f64_e64 v[6:7], v[39:40], -v[43:44]
	v_fma_f64 v[10:11], v[16:17], s[0:1], v[10:11]
	v_fma_f64 v[84:85], v[47:48], 2.0, -v[78:79]
	v_fma_f64 v[80:81], v[30:31], 2.0, -v[4:5]
	v_fma_f64 v[0:1], v[4:5], s[2:3], v[53:54]
	v_fma_f64 v[82:83], v[45:46], 2.0, -v[53:54]
	v_fma_f64 v[45:46], v[58:59], 2.0, -v[45:46]
	;; [unrolled: 1-line block ×3, first 2 shown]
	v_fma_f64 v[2:3], v[6:7], s[2:3], v[78:79]
	v_fma_f64 v[0:1], v[6:7], s[2:3], v[0:1]
	s_delay_alu instid0(VALU_DEP_2) | instskip(SKIP_3) | instid1(VALU_DEP_3)
	v_fma_f64 v[2:3], v[4:5], s[0:1], v[2:3]
	v_fma_f64 v[4:5], v[39:40], 2.0, -v[6:7]
	v_fma_f64 v[6:7], v[80:81], s[0:1], v[82:83]
	v_fma_f64 v[39:40], v[26:27], 2.0, -v[39:40]
	v_fma_f64 v[86:87], v[4:5], s[0:1], v[84:85]
	s_delay_alu instid0(VALU_DEP_3) | instskip(NEXT) | instid1(VALU_DEP_2)
	v_fma_f64 v[4:5], v[4:5], s[2:3], v[6:7]
	v_fma_f64 v[6:7], v[80:81], s[0:1], v[86:87]
	v_add_f64_e32 v[80:81], v[22:23], v[62:63]
	v_add_f64_e64 v[86:87], v[55:56], -v[60:61]
	s_delay_alu instid0(VALU_DEP_2) | instskip(NEXT) | instid1(VALU_DEP_2)
	v_fma_f64 v[8:9], v[72:73], s[2:3], v[80:81]
	v_fma_f64 v[55:56], v[55:56], 2.0, -v[86:87]
	s_delay_alu instid0(VALU_DEP_2) | instskip(SKIP_1) | instid1(VALU_DEP_2)
	v_fma_f64 v[92:93], v[68:69], s[2:3], v[8:9]
	v_fma_f64 v[8:9], v[68:69], s[2:3], v[86:87]
	v_fma_f64 v[98:99], v[80:81], 2.0, -v[92:93]
	s_delay_alu instid0(VALU_DEP_2)
	v_fma_f64 v[94:95], v[72:73], s[0:1], v[8:9]
	v_fma_f64 v[8:9], v[16:17], s[2:3], v[88:89]
	v_fma_f64 v[16:17], v[64:65], 2.0, -v[72:73]
	v_fma_f64 v[64:65], v[76:77], 2.0, -v[90:91]
	;; [unrolled: 1-line block ×4, first 2 shown]
	v_fma_f64 v[62:63], v[10:11], s[16:17], v[94:95]
	v_fma_f64 v[8:9], v[18:19], s[2:3], v[8:9]
	;; [unrolled: 1-line block ×3, first 2 shown]
	v_fma_f64 v[100:101], v[86:87], 2.0, -v[94:95]
	s_delay_alu instid0(VALU_DEP_3) | instskip(NEXT) | instid1(VALU_DEP_3)
	v_fma_f64 v[60:61], v[8:9], s[16:17], v[92:93]
	v_fma_f64 v[66:67], v[14:15], s[2:3], v[18:19]
	;; [unrolled: 1-line block ×3, first 2 shown]
	v_fma_f64 v[18:19], v[28:29], 2.0, -v[51:52]
	s_wait_alu 0xfffe
	v_fma_f64 v[62:63], v[8:9], s[14:15], v[62:63]
	v_fma_f64 v[96:97], v[88:89], 2.0, -v[8:9]
	v_fma_f64 v[8:9], v[90:91], 2.0, -v[10:11]
	v_fma_f64 v[60:61], v[10:11], s[12:13], v[60:61]
	v_fma_f64 v[68:69], v[12:13], s[0:1], v[14:15]
	;; [unrolled: 1-line block ×5, first 2 shown]
	v_fma_f64 v[28:29], v[92:93], 2.0, -v[60:61]
	s_delay_alu instid0(VALU_DEP_4)
	v_fma_f64 v[72:73], v[16:17], s[0:1], v[12:13]
	v_fma_f64 v[12:13], v[16:17], s[0:1], v[80:81]
	v_fma_f64 v[16:17], v[20:21], 2.0, -v[49:50]
	v_fma_f64 v[49:50], v[24:25], 2.0, -v[30:31]
	;; [unrolled: 1-line block ×3, first 2 shown]
	v_add_f64_e64 v[37:38], v[47:48], -v[18:19]
	v_fma_f64 v[8:9], v[8:9], s[16:17], v[10:11]
	v_fma_f64 v[10:11], v[96:97], s[10:11], v[102:103]
	v_fma_f64 v[30:31], v[94:95], 2.0, -v[62:63]
	v_fma_f64 v[55:56], v[55:56], 2.0, -v[72:73]
	v_fma_f64 v[76:77], v[22:23], s[2:3], v[12:13]
	v_fma_f64 v[22:23], v[35:36], 2.0, -v[43:44]
	v_add_f64_e64 v[35:36], v[45:46], -v[16:17]
	v_add_f64_e64 v[41:42], v[39:40], -v[20:21]
	v_fma_f64 v[12:13], v[68:69], s[12:13], v[72:73]
	v_fma_f64 v[24:25], v[66:67], s[12:13], v[76:77]
	v_add_f64_e64 v[43:44], v[49:50], -v[22:23]
	v_fma_f64 v[51:52], v[80:81], 2.0, -v[76:77]
	v_add_f64_e32 v[16:17], v[35:36], v[41:42]
	v_fma_f64 v[14:15], v[66:67], s[10:11], v[12:13]
	v_fma_f64 v[12:13], v[68:69], s[16:17], v[24:25]
	v_add_f64_e64 v[18:19], v[37:38], -v[43:44]
	s_delay_alu instid0(VALU_DEP_4) | instskip(NEXT) | instid1(VALU_DEP_2)
	v_fma_f64 v[20:21], v[35:36], 2.0, -v[16:17]
	v_fma_f64 v[22:23], v[37:38], 2.0, -v[18:19]
	ds_store_b128 v33, v[16:19] offset:576
	v_fma_f64 v[18:19], v[74:75], 2.0, -v[66:67]
	v_fma_f64 v[16:17], v[64:65], 2.0, -v[68:69]
	s_delay_alu instid0(VALU_DEP_2) | instskip(NEXT) | instid1(VALU_DEP_2)
	v_fma_f64 v[24:25], v[18:19], s[10:11], v[51:52]
	v_fma_f64 v[26:27], v[16:17], s[10:11], v[55:56]
	s_delay_alu instid0(VALU_DEP_2) | instskip(NEXT) | instid1(VALU_DEP_2)
	v_fma_f64 v[16:17], v[16:17], s[12:13], v[24:25]
	v_fma_f64 v[18:19], v[18:19], s[14:15], v[26:27]
	v_fma_f64 v[24:25], v[53:54], 2.0, -v[0:1]
	v_fma_f64 v[26:27], v[78:79], 2.0, -v[2:3]
	ds_store_b128 v33, v[24:27] offset:288
	ds_store_b128 v33, v[28:31] offset:336
	;; [unrolled: 1-line block ×5, first 2 shown]
	v_fma_f64 v[28:29], v[45:46], 2.0, -v[35:36]
	v_fma_f64 v[30:31], v[47:48], 2.0, -v[37:38]
	;; [unrolled: 1-line block ×12, first 2 shown]
	v_add_f64_e64 v[0:1], v[28:29], -v[0:1]
	v_add_f64_e64 v[2:3], v[30:31], -v[2:3]
	s_delay_alu instid0(VALU_DEP_2) | instskip(NEXT) | instid1(VALU_DEP_2)
	v_fma_f64 v[28:29], v[28:29], 2.0, -v[0:1]
	v_fma_f64 v[30:31], v[30:31], 2.0, -v[2:3]
	ds_store_b128 v33, v[60:63] offset:720
	ds_store_b128 v33, v[12:15] offset:624
	;; [unrolled: 1-line block ×8, first 2 shown]
	ds_store_b128 v33, v[28:31]
	ds_store_b128 v33, v[35:38] offset:48
	global_wb scope:SCOPE_SE
	s_wait_dscnt 0x0
	s_barrier_signal -1
	s_barrier_wait -1
	global_inv scope:SCOPE_SE
	ds_load_b128 v[80:83], v34
	ds_load_b128 v[76:79], v34 offset:432
	ds_load_b128 v[84:87], v34 offset:4608
	;; [unrolled: 1-line block ×14, first 2 shown]
	s_and_saveexec_b32 s0, vcc_lo
	s_cbranch_execz .LBB0_23
; %bb.22:
	ds_load_b128 v[60:63], v34 offset:2160
	ds_load_b128 v[228:231], v34 offset:4464
	;; [unrolled: 1-line block ×3, first 2 shown]
.LBB0_23:
	s_wait_alu 0xfffe
	s_or_b32 exec_lo, exec_lo, s0
	s_wait_dscnt 0xa
	v_mul_f64_e32 v[43:44], v[138:139], v[30:31]
	v_mul_f64_e32 v[39:40], v[130:131], v[86:87]
	;; [unrolled: 1-line block ×3, first 2 shown]
	s_wait_dscnt 0x4
	v_mul_f64_e32 v[35:36], v[122:123], v[90:91]
	v_mul_f64_e32 v[37:38], v[122:123], v[88:89]
	s_mov_b32 s0, 0xe8584caa
	s_mov_b32 s1, 0xbfebb67a
	;; [unrolled: 1-line block ×3, first 2 shown]
	s_wait_alu 0xfffe
	s_mov_b32 s2, s0
	global_wb scope:SCOPE_SE
	s_wait_dscnt 0x0
	s_barrier_signal -1
	s_barrier_wait -1
	global_inv scope:SCOPE_SE
	v_fma_f64 v[43:44], v[136:137], v[28:29], v[43:44]
	v_mul_f64_e32 v[28:29], v[138:139], v[28:29]
	v_fma_f64 v[39:40], v[128:129], v[84:85], v[39:40]
	v_fma_f64 v[41:42], v[128:129], v[86:87], -v[41:42]
	v_fma_f64 v[35:36], v[120:121], v[88:89], v[35:36]
	v_fma_f64 v[37:38], v[120:121], v[90:91], -v[37:38]
	v_fma_f64 v[28:29], v[136:137], v[30:31], -v[28:29]
	v_mul_f64_e32 v[30:31], v[142:143], v[22:23]
	s_delay_alu instid0(VALU_DEP_1) | instskip(SKIP_1) | instid1(VALU_DEP_1)
	v_fma_f64 v[30:31], v[140:141], v[20:21], v[30:31]
	v_mul_f64_e32 v[20:21], v[142:143], v[20:21]
	v_fma_f64 v[20:21], v[140:141], v[22:23], -v[20:21]
	v_mul_f64_e32 v[22:23], v[126:127], v[14:15]
	s_delay_alu instid0(VALU_DEP_1) | instskip(SKIP_1) | instid1(VALU_DEP_1)
	v_fma_f64 v[45:46], v[124:125], v[12:13], v[22:23]
	v_mul_f64_e32 v[12:13], v[126:127], v[12:13]
	v_fma_f64 v[47:48], v[124:125], v[14:15], -v[12:13]
	v_mul_f64_e32 v[12:13], v[134:135], v[18:19]
	s_delay_alu instid0(VALU_DEP_1) | instskip(SKIP_2) | instid1(VALU_DEP_2)
	v_fma_f64 v[49:50], v[132:133], v[16:17], v[12:13]
	v_mul_f64_e32 v[12:13], v[134:135], v[16:17]
	v_add_f64_e32 v[16:17], v[76:77], v[43:44]
	v_fma_f64 v[51:52], v[132:133], v[18:19], -v[12:13]
	v_mul_f64_e32 v[12:13], v[146:147], v[26:27]
	s_delay_alu instid0(VALU_DEP_1) | instskip(SKIP_1) | instid1(VALU_DEP_1)
	v_fma_f64 v[53:54], v[144:145], v[24:25], v[12:13]
	v_mul_f64_e32 v[12:13], v[146:147], v[24:25]
	v_fma_f64 v[24:25], v[144:145], v[26:27], -v[12:13]
	v_mul_f64_e32 v[12:13], v[150:151], v[6:7]
	s_delay_alu instid0(VALU_DEP_1) | instskip(SKIP_2) | instid1(VALU_DEP_2)
	v_fma_f64 v[26:27], v[148:149], v[4:5], v[12:13]
	v_mul_f64_e32 v[4:5], v[150:151], v[4:5]
	v_add_f64_e64 v[12:13], v[35:36], -v[39:40]
	v_fma_f64 v[55:56], v[148:149], v[6:7], -v[4:5]
	v_mul_f64_e32 v[4:5], v[154:155], v[10:11]
	s_delay_alu instid0(VALU_DEP_1) | instskip(SKIP_2) | instid1(VALU_DEP_2)
	v_fma_f64 v[58:59], v[152:153], v[8:9], v[4:5]
	v_mul_f64_e32 v[4:5], v[154:155], v[8:9]
	v_add_f64_e64 v[8:9], v[37:38], -v[41:42]
	v_fma_f64 v[84:85], v[152:153], v[10:11], -v[4:5]
	v_mul_f64_e32 v[4:5], v[158:159], v[2:3]
	s_delay_alu instid0(VALU_DEP_1) | instskip(SKIP_2) | instid1(VALU_DEP_2)
	v_fma_f64 v[86:87], v[156:157], v[0:1], v[4:5]
	v_mul_f64_e32 v[0:1], v[158:159], v[0:1]
	v_add_f64_e32 v[4:5], v[80:81], v[35:36]
	v_fma_f64 v[88:89], v[156:157], v[2:3], -v[0:1]
	v_mul_f64_e32 v[0:1], v[170:171], v[230:231]
	s_delay_alu instid0(VALU_DEP_1) | instskip(SKIP_1) | instid1(VALU_DEP_1)
	v_fma_f64 v[90:91], v[168:169], v[228:229], v[0:1]
	v_mul_f64_e32 v[0:1], v[170:171], v[228:229]
	v_fma_f64 v[92:93], v[168:169], v[230:231], -v[0:1]
	v_mul_f64_e32 v[0:1], v[174:175], v[234:235]
	s_delay_alu instid0(VALU_DEP_1) | instskip(SKIP_1) | instid1(VALU_DEP_1)
	v_fma_f64 v[94:95], v[172:173], v[232:233], v[0:1]
	v_mul_f64_e32 v[0:1], v[174:175], v[232:233]
	v_fma_f64 v[96:97], v[172:173], v[234:235], -v[0:1]
	v_add_f64_e32 v[0:1], v[35:36], v[39:40]
	v_add_f64_e32 v[35:36], v[62:63], v[92:93]
	s_delay_alu instid0(VALU_DEP_2) | instskip(SKIP_1) | instid1(VALU_DEP_1)
	v_fma_f64 v[6:7], v[0:1], -0.5, v[80:81]
	v_add_f64_e32 v[0:1], v[37:38], v[41:42]
	v_fma_f64 v[10:11], v[0:1], -0.5, v[82:83]
	v_add_f64_e32 v[0:1], v[82:83], v[37:38]
	v_add_f64_e32 v[37:38], v[60:61], v[90:91]
	s_delay_alu instid0(VALU_DEP_2)
	v_add_f64_e32 v[2:3], v[0:1], v[41:42]
	v_add_f64_e32 v[0:1], v[4:5], v[39:40]
	v_fma_f64 v[4:5], v[8:9], s[0:1], v[6:7]
	s_wait_alu 0xfffe
	v_fma_f64 v[8:9], v[8:9], s[2:3], v[6:7]
	v_fma_f64 v[6:7], v[12:13], s[2:3], v[10:11]
	;; [unrolled: 1-line block ×3, first 2 shown]
	v_add_f64_e32 v[12:13], v[43:44], v[30:31]
	v_add_f64_e64 v[39:40], v[92:93], -v[96:97]
	ds_store_b128 v34, v[0:3]
	ds_store_b128 v34, v[4:7] offset:768
	ds_store_b128 v34, v[8:11] offset:1536
	scratch_load_b32 v0, off, off offset:292 th:TH_LOAD_LU ; 4-byte Folded Reload
	v_add_f64_e32 v[2:3], v[74:75], v[47:48]
	v_fma_f64 v[18:19], v[12:13], -0.5, v[76:77]
	v_add_f64_e32 v[12:13], v[28:29], v[20:21]
	v_add_f64_e64 v[8:9], v[47:48], -v[51:52]
	v_add_f64_e64 v[10:11], v[45:46], -v[49:50]
	v_add_f64_e32 v[2:3], v[2:3], v[51:52]
	s_delay_alu instid0(VALU_DEP_4) | instskip(SKIP_2) | instid1(VALU_DEP_2)
	v_fma_f64 v[22:23], v[12:13], -0.5, v[78:79]
	v_add_f64_e32 v[12:13], v[78:79], v[28:29]
	v_add_f64_e64 v[28:29], v[28:29], -v[20:21]
	v_add_f64_e32 v[14:15], v[12:13], v[20:21]
	v_add_f64_e32 v[12:13], v[16:17], v[30:31]
	v_add_f64_e64 v[30:31], v[43:44], -v[30:31]
	s_delay_alu instid0(VALU_DEP_4) | instskip(SKIP_2) | instid1(VALU_DEP_4)
	v_fma_f64 v[16:17], v[28:29], s[0:1], v[18:19]
	v_fma_f64 v[20:21], v[28:29], s[2:3], v[18:19]
	v_add_f64_e64 v[28:29], v[58:59], -v[86:87]
	v_fma_f64 v[18:19], v[30:31], s[2:3], v[22:23]
	v_fma_f64 v[22:23], v[30:31], s[0:1], v[22:23]
	v_add_f64_e32 v[30:31], v[92:93], v[96:97]
	s_wait_loadcnt 0x0
	ds_store_b128 v0, v[12:15]
	ds_store_b128 v0, v[16:19] offset:768
	ds_store_b128 v0, v[20:23] offset:1536
	scratch_load_b32 v12, off, off offset:288 th:TH_LOAD_LU ; 4-byte Folded Reload
	v_add_f64_e32 v[0:1], v[45:46], v[49:50]
	v_add_f64_e64 v[16:17], v[53:54], -v[26:27]
	v_add_f64_e32 v[20:21], v[64:65], v[58:59]
	v_fma_f64 v[30:31], v[30:31], -0.5, v[62:63]
	v_add_f64_e32 v[62:63], v[35:36], v[96:97]
	v_add_f64_e64 v[35:36], v[90:91], -v[94:95]
	v_fma_f64 v[4:5], v[0:1], -0.5, v[72:73]
	v_add_f64_e32 v[0:1], v[47:48], v[51:52]
	s_delay_alu instid0(VALU_DEP_1) | instskip(SKIP_1) | instid1(VALU_DEP_1)
	v_fma_f64 v[6:7], v[0:1], -0.5, v[74:75]
	v_add_f64_e32 v[0:1], v[72:73], v[45:46]
	v_add_f64_e32 v[0:1], v[0:1], v[49:50]
	ds_store_b128 v34, v[0:3] offset:2400
	v_fma_f64 v[0:1], v[8:9], s[0:1], v[4:5]
	v_fma_f64 v[2:3], v[10:11], s[2:3], v[6:7]
	s_wait_loadcnt 0x0
	ds_store_b128 v12, v[0:3] offset:3072
	v_fma_f64 v[0:1], v[8:9], s[2:3], v[4:5]
	v_fma_f64 v[2:3], v[10:11], s[0:1], v[6:7]
	v_add_f64_e32 v[4:5], v[53:54], v[26:27]
	v_add_f64_e32 v[8:9], v[68:69], v[53:54]
	v_add_f64_e64 v[12:13], v[24:25], -v[55:56]
	ds_store_b128 v34, v[0:3] offset:3936
	scratch_load_b32 v0, off, off offset:284 th:TH_LOAD_LU ; 4-byte Folded Reload
	v_fma_f64 v[10:11], v[4:5], -0.5, v[68:69]
	v_add_f64_e32 v[4:5], v[24:25], v[55:56]
	s_delay_alu instid0(VALU_DEP_1) | instskip(SKIP_3) | instid1(VALU_DEP_3)
	v_fma_f64 v[14:15], v[4:5], -0.5, v[70:71]
	v_add_f64_e32 v[4:5], v[70:71], v[24:25]
	v_add_f64_e64 v[24:25], v[84:85], -v[88:89]
	v_fma_f64 v[70:71], v[35:36], s[0:1], v[30:31]
	v_add_f64_e32 v[6:7], v[4:5], v[55:56]
	v_add_f64_e32 v[4:5], v[8:9], v[26:27]
	v_fma_f64 v[8:9], v[12:13], s[0:1], v[10:11]
	v_fma_f64 v[12:13], v[12:13], s[2:3], v[10:11]
	;; [unrolled: 1-line block ×4, first 2 shown]
	v_add_f64_e32 v[16:17], v[58:59], v[86:87]
	s_wait_loadcnt 0x0
	ds_store_b128 v0, v[4:7]
	ds_store_b128 v0, v[8:11] offset:768
	ds_store_b128 v0, v[12:15] offset:1536
	scratch_load_b32 v0, off, off offset:280 th:TH_LOAD_LU ; 4-byte Folded Reload
	v_fma_f64 v[22:23], v[16:17], -0.5, v[64:65]
	v_add_f64_e32 v[16:17], v[84:85], v[88:89]
	s_delay_alu instid0(VALU_DEP_1) | instskip(SKIP_2) | instid1(VALU_DEP_2)
	v_fma_f64 v[26:27], v[16:17], -0.5, v[66:67]
	v_add_f64_e32 v[16:17], v[66:67], v[84:85]
	v_fma_f64 v[66:67], v[35:36], s[2:3], v[30:31]
	v_add_f64_e32 v[18:19], v[16:17], v[88:89]
	v_add_f64_e32 v[16:17], v[20:21], v[86:87]
	v_fma_f64 v[20:21], v[24:25], s[0:1], v[22:23]
	v_fma_f64 v[24:25], v[24:25], s[2:3], v[22:23]
	;; [unrolled: 1-line block ×4, first 2 shown]
	v_add_f64_e32 v[28:29], v[90:91], v[94:95]
	s_wait_loadcnt 0x0
	ds_store_b128 v0, v[16:19] offset:4608
	ds_store_b128 v0, v[20:23] offset:5376
	;; [unrolled: 1-line block ×3, first 2 shown]
	v_fma_f64 v[28:29], v[28:29], -0.5, v[60:61]
	v_add_f64_e32 v[60:61], v[37:38], v[94:95]
	s_delay_alu instid0(VALU_DEP_2)
	v_fma_f64 v[64:65], v[39:40], s[0:1], v[28:29]
	v_fma_f64 v[68:69], v[39:40], s[2:3], v[28:29]
	s_and_saveexec_b32 s0, vcc_lo
	s_cbranch_execz .LBB0_25
; %bb.24:
	scratch_load_b32 v0, off, off offset:276 th:TH_LOAD_LU ; 4-byte Folded Reload
	s_wait_loadcnt 0x0
	v_lshl_add_u32 v0, v0, 4, v57
	ds_store_b128 v0, v[60:63] offset:4608
	ds_store_b128 v0, v[64:67] offset:5376
	;; [unrolled: 1-line block ×3, first 2 shown]
.LBB0_25:
	s_wait_alu 0xfffe
	s_or_b32 exec_lo, exec_lo, s0
	global_wb scope:SCOPE_SE
	s_wait_dscnt 0x0
	s_barrier_signal -1
	s_barrier_wait -1
	global_inv scope:SCOPE_SE
	ds_load_b128 v[76:79], v34
	ds_load_b128 v[72:75], v34 offset:432
	ds_load_b128 v[12:15], v34 offset:4608
	;; [unrolled: 1-line block ×14, first 2 shown]
	scratch_load_b32 v33, off, off offset:296 th:TH_LOAD_LU ; 4-byte Folded Reload
	s_wait_loadcnt 0x0
	v_add_nc_u32_e32 v33, 0x6c0, v33
	s_and_saveexec_b32 s0, vcc_lo
	s_cbranch_execz .LBB0_27
; %bb.26:
	ds_load_b128 v[60:63], v34 offset:2160
	ds_load_b128 v[64:67], v34 offset:4464
	;; [unrolled: 1-line block ×3, first 2 shown]
.LBB0_27:
	s_wait_alu 0xfffe
	s_or_b32 exec_lo, exec_lo, s0
	s_wait_dscnt 0x4
	v_mul_f64_e32 v[35:36], v[178:179], v[98:99]
	v_mul_f64_e32 v[37:38], v[182:183], v[14:15]
	;; [unrolled: 1-line block ×12, first 2 shown]
	s_wait_dscnt 0x2
	v_mul_f64_e32 v[100:101], v[202:203], v[94:95]
	v_mul_f64_e32 v[102:103], v[206:207], v[10:11]
	;; [unrolled: 1-line block ×4, first 2 shown]
	s_wait_dscnt 0x1
	v_mul_f64_e32 v[108:109], v[210:211], v[22:23]
	s_wait_dscnt 0x0
	v_mul_f64_e32 v[110:111], v[214:215], v[26:27]
	v_mul_f64_e32 v[112:113], v[210:211], v[20:21]
	;; [unrolled: 1-line block ×3, first 2 shown]
	s_mov_b32 s0, 0xe8584caa
	s_mov_b32 s1, 0xbfebb67a
	s_wait_alu 0xfffe
	s_mov_b32 s2, s0
	v_fma_f64 v[35:36], v[176:177], v[96:97], v[35:36]
	v_fma_f64 v[12:13], v[180:181], v[12:13], v[37:38]
	v_fma_f64 v[37:38], v[176:177], v[98:99], -v[39:40]
	v_fma_f64 v[16:17], v[184:185], v[16:17], v[43:44]
	v_fma_f64 v[39:40], v[188:189], v[0:1], v[45:46]
	v_fma_f64 v[0:1], v[184:185], v[18:19], -v[47:48]
	v_fma_f64 v[18:19], v[188:189], v[2:3], -v[49:50]
	;; [unrolled: 1-line block ×3, first 2 shown]
	v_fma_f64 v[2:3], v[192:193], v[4:5], v[51:52]
	v_fma_f64 v[28:29], v[196:197], v[28:29], v[53:54]
	v_fma_f64 v[4:5], v[192:193], v[6:7], -v[55:56]
	v_fma_f64 v[30:31], v[196:197], v[30:31], -v[57:58]
	v_fma_f64 v[6:7], v[200:201], v[92:93], v[100:101]
	v_fma_f64 v[41:42], v[204:205], v[8:9], v[102:103]
	v_fma_f64 v[8:9], v[200:201], v[94:95], -v[104:105]
	v_fma_f64 v[43:44], v[204:205], v[10:11], -v[106:107]
	;; [unrolled: 4-line block ×3, first 2 shown]
	v_add_f64_e32 v[96:97], v[76:77], v[35:36]
	v_add_f64_e32 v[26:27], v[35:36], v[12:13]
	v_add_f64_e64 v[35:36], v[35:36], -v[12:13]
	v_add_f64_e32 v[100:101], v[72:73], v[16:17]
	v_add_f64_e32 v[47:48], v[16:17], v[39:40]
	;; [unrolled: 1-line block ×5, first 2 shown]
	v_add_f64_e64 v[98:99], v[37:38], -v[14:15]
	v_add_f64_e32 v[51:52], v[2:3], v[28:29]
	v_add_f64_e32 v[37:38], v[78:79], v[37:38]
	;; [unrolled: 1-line block ×13, first 2 shown]
	v_fma_f64 v[26:27], v[26:27], -0.5, v[76:77]
	v_add_f64_e64 v[76:77], v[0:1], -v[18:19]
	v_add_f64_e32 v[0:1], v[96:97], v[12:13]
	v_fma_f64 v[47:48], v[47:48], -0.5, v[72:73]
	v_add_f64_e64 v[72:73], v[16:17], -v[39:40]
	v_fma_f64 v[49:50], v[49:50], -0.5, v[74:75]
	v_fma_f64 v[45:46], v[45:46], -0.5, v[78:79]
	v_add_f64_e64 v[74:75], v[4:5], -v[30:31]
	v_fma_f64 v[51:52], v[51:52], -0.5, v[88:89]
	v_add_f64_e64 v[78:79], v[2:3], -v[28:29]
	;; [unrolled: 2-line block ×6, first 2 shown]
	v_fma_f64 v[86:87], v[94:95], -0.5, v[86:87]
	v_add_f64_e32 v[2:3], v[37:38], v[14:15]
	v_add_f64_e32 v[4:5], v[100:101], v[39:40]
	;; [unrolled: 1-line block ×9, first 2 shown]
	v_fma_f64 v[20:21], v[98:99], s[0:1], v[26:27]
	s_wait_alu 0xfffe
	v_fma_f64 v[24:25], v[98:99], s[2:3], v[26:27]
	v_fma_f64 v[28:29], v[76:77], s[0:1], v[47:48]
	v_fma_f64 v[30:31], v[72:73], s[2:3], v[49:50]
	v_fma_f64 v[22:23], v[35:36], s[2:3], v[45:46]
	v_fma_f64 v[26:27], v[35:36], s[0:1], v[45:46]
	v_fma_f64 v[39:40], v[74:75], s[0:1], v[51:52]
	v_fma_f64 v[35:36], v[76:77], s[2:3], v[47:48]
	v_fma_f64 v[41:42], v[78:79], s[2:3], v[53:54]
	v_fma_f64 v[37:38], v[72:73], s[0:1], v[49:50]
	v_fma_f64 v[43:44], v[74:75], s[2:3], v[51:52]
	v_fma_f64 v[45:46], v[78:79], s[0:1], v[53:54]
	v_fma_f64 v[47:48], v[88:89], s[0:1], v[55:56]
	v_fma_f64 v[49:50], v[80:81], s[2:3], v[57:58]
	v_fma_f64 v[51:52], v[88:89], s[2:3], v[55:56]
	v_fma_f64 v[53:54], v[80:81], s[0:1], v[57:58]
	v_fma_f64 v[72:73], v[82:83], s[0:1], v[84:85]
	v_fma_f64 v[74:75], v[90:91], s[2:3], v[86:87]
	v_fma_f64 v[76:77], v[82:83], s[2:3], v[84:85]
	v_fma_f64 v[78:79], v[90:91], s[0:1], v[86:87]
	ds_store_b128 v34, v[0:3]
	ds_store_b128 v34, v[4:7] offset:432
	ds_store_b128 v34, v[8:11] offset:864
	;; [unrolled: 1-line block ×14, first 2 shown]
	s_and_saveexec_b32 s10, vcc_lo
	s_cbranch_execz .LBB0_29
; %bb.28:
	s_clause 0x1
	scratch_load_b128 v[8:11], off, off offset:304 th:TH_LOAD_LU
	scratch_load_b128 v[12:15], off, off offset:320 th:TH_LOAD_LU
	s_wait_loadcnt 0x1
	v_mul_f64_e32 v[0:1], v[10:11], v[64:65]
	s_wait_loadcnt 0x0
	v_mul_f64_e32 v[2:3], v[14:15], v[68:69]
	v_mul_f64_e32 v[4:5], v[10:11], v[66:67]
	;; [unrolled: 1-line block ×3, first 2 shown]
	s_delay_alu instid0(VALU_DEP_4) | instskip(NEXT) | instid1(VALU_DEP_4)
	v_fma_f64 v[0:1], v[8:9], v[66:67], -v[0:1]
	v_fma_f64 v[2:3], v[12:13], v[70:71], -v[2:3]
	s_delay_alu instid0(VALU_DEP_4) | instskip(NEXT) | instid1(VALU_DEP_4)
	v_fma_f64 v[4:5], v[8:9], v[64:65], v[4:5]
	v_fma_f64 v[6:7], v[12:13], v[68:69], v[6:7]
	s_delay_alu instid0(VALU_DEP_4) | instskip(NEXT) | instid1(VALU_DEP_4)
	v_add_f64_e32 v[14:15], v[62:63], v[0:1]
	v_add_f64_e32 v[8:9], v[0:1], v[2:3]
	v_add_f64_e64 v[16:17], v[0:1], -v[2:3]
	s_delay_alu instid0(VALU_DEP_4)
	v_add_f64_e32 v[10:11], v[4:5], v[6:7]
	v_add_f64_e64 v[12:13], v[4:5], -v[6:7]
	v_add_f64_e32 v[4:5], v[60:61], v[4:5]
	v_add_f64_e32 v[2:3], v[14:15], v[2:3]
	v_fma_f64 v[8:9], v[8:9], -0.5, v[62:63]
	v_fma_f64 v[18:19], v[10:11], -0.5, v[60:61]
	s_delay_alu instid0(VALU_DEP_4) | instskip(NEXT) | instid1(VALU_DEP_3)
	v_add_f64_e32 v[0:1], v[4:5], v[6:7]
	v_fma_f64 v[6:7], v[12:13], s[0:1], v[8:9]
	v_fma_f64 v[10:11], v[12:13], s[2:3], v[8:9]
	s_delay_alu instid0(VALU_DEP_4)
	v_fma_f64 v[8:9], v[16:17], s[0:1], v[18:19]
	v_fma_f64 v[4:5], v[16:17], s[2:3], v[18:19]
	ds_store_b128 v34, v[0:3] offset:2160
	ds_store_b128 v34, v[8:11] offset:4464
	;; [unrolled: 1-line block ×3, first 2 shown]
.LBB0_29:
	s_wait_alu 0xfffe
	s_or_b32 exec_lo, exec_lo, s10
	global_wb scope:SCOPE_SE
	s_wait_dscnt 0x0
	s_barrier_signal -1
	s_barrier_wait -1
	global_inv scope:SCOPE_SE
	ds_load_b128 v[0:3], v34
	ds_load_b128 v[4:7], v34 offset:2304
	ds_load_b128 v[8:11], v34 offset:4608
	;; [unrolled: 1-line block ×3, first 2 shown]
	scratch_load_b64 v[16:17], off, off offset:8 th:TH_LOAD_LU ; 8-byte Folded Reload
	v_or_b32_e32 v90, 0x120, v32
	v_mad_co_u64_u32 v[82:83], null, s4, v32, 0
	s_mul_u64 s[0:1], s[4:5], 0x90
	s_mov_b32 s2, 0xbda12f68
	s_delay_alu instid0(VALU_DEP_2) | instskip(SKIP_4) | instid1(VALU_DEP_1)
	v_mad_co_u64_u32 v[84:85], null, s4, v90, 0
	s_wait_alu 0xfffe
	s_lshl_b64 s[10:11], s[0:1], 4
	s_mov_b32 s3, 0x3f62f684
	s_wait_loadcnt 0x0
	v_dual_mov_b32 v59, v85 :: v_dual_mov_b32 v86, v16
	ds_load_b128 v[16:19], v34 offset:5040
	ds_load_b128 v[20:23], v34 offset:1728
	s_clause 0x2
	scratch_load_b128 v[99:102], off, off offset:112 th:TH_LOAD_LU
	scratch_load_b128 v[95:98], off, off offset:96 th:TH_LOAD_LU
	;; [unrolled: 1-line block ×3, first 2 shown]
	ds_load_b128 v[24:27], v34 offset:2736
	v_mad_co_u64_u32 v[55:56], null, s6, v86, 0
	s_mul_i32 s6, s5, 0xfffff8b0
	s_wait_alu 0xfffe
	s_sub_co_i32 s1, s6, s4
	s_delay_alu instid0(VALU_DEP_1) | instskip(NEXT) | instid1(VALU_DEP_1)
	v_dual_mov_b32 v33, v56 :: v_dual_mov_b32 v56, v83
	v_mad_co_u64_u32 v[85:86], null, s7, v86, v[33:34]
	s_wait_loadcnt_dscnt 0x206
	v_mul_f64_e32 v[57:58], v[101:102], v[2:3]
	v_mul_f64_e32 v[68:69], v[101:102], v[0:1]
	scratch_load_b128 v[101:104], off, off offset:208 th:TH_LOAD_LU ; 16-byte Folded Reload
	ds_load_b128 v[28:31], v34 offset:3168
	ds_load_b128 v[35:38], v34 offset:864
	;; [unrolled: 1-line block ×8, first 2 shown]
	s_clause 0x3
	scratch_load_b128 v[116:119], off, off offset:32 th:TH_LOAD_LU
	scratch_load_b128 v[112:115], off, off offset:16 th:TH_LOAD_LU
	;; [unrolled: 1-line block ×4, first 2 shown]
	s_wait_loadcnt_dscnt 0x50b
	v_mul_f64_e32 v[78:79], v[93:94], v[14:15]
	v_mul_f64_e32 v[80:81], v[93:94], v[12:13]
	;; [unrolled: 1-line block ×4, first 2 shown]
	v_mad_co_u64_u32 v[32:33], null, s5, v32, v[56:57]
	v_fma_f64 v[0:1], v[99:100], v[0:1], v[57:58]
	s_wait_dscnt 0x1
	v_mad_co_u64_u32 v[57:58], null, s5, v90, v[59:60]
	v_fma_f64 v[2:3], v[99:100], v[2:3], -v[68:69]
	s_delay_alu instid0(VALU_DEP_4) | instskip(SKIP_2) | instid1(VALU_DEP_3)
	v_dual_mov_b32 v56, v85 :: v_dual_mov_b32 v83, v32
	v_fma_f64 v[12:13], v[91:92], v[12:13], v[78:79]
	v_fma_f64 v[14:15], v[91:92], v[14:15], -v[80:81]
	v_lshlrev_b64_e32 v[32:33], 4, v[55:56]
	v_fma_f64 v[8:9], v[95:96], v[8:9], v[74:75]
	v_fma_f64 v[10:11], v[95:96], v[10:11], -v[76:77]
	v_mov_b32_e32 v85, v57
	v_lshlrev_b64_e32 v[82:83], 4, v[82:83]
	v_add_co_u32 v110, s0, s8, v32
	s_wait_alu 0xf1ff
	v_add_co_ci_u32_e64 v111, s0, s9, v33, s0
	v_lshlrev_b64_e32 v[84:85], 4, v[84:85]
	s_delay_alu instid0(VALU_DEP_3) | instskip(SKIP_1) | instid1(VALU_DEP_3)
	v_add_co_u32 v82, s0, v110, v82
	s_wait_alu 0xf1ff
	v_add_co_ci_u32_e64 v83, s0, v111, v83, s0
	v_mul_f64_e32 v[0:1], s[2:3], v[0:1]
	v_mul_f64_e32 v[2:3], s[2:3], v[2:3]
	;; [unrolled: 1-line block ×6, first 2 shown]
	s_wait_loadcnt 0x4
	v_mul_f64_e32 v[70:71], v[103:104], v[6:7]
	v_mul_f64_e32 v[72:73], v[103:104], v[4:5]
	s_wait_loadcnt 0x3
	v_mul_f64_e32 v[86:87], v[118:119], v[26:27]
	v_mul_f64_e32 v[88:89], v[118:119], v[24:25]
	scratch_load_b128 v[118:121], off, off offset:48 th:TH_LOAD_LU ; 16-byte Folded Reload
	s_wait_loadcnt 0x3
	v_mul_f64_e32 v[58:59], v[114:115], v[18:19]
	v_mul_f64_e32 v[68:69], v[114:115], v[16:17]
	v_fma_f64 v[4:5], v[101:102], v[4:5], v[70:71]
	v_fma_f64 v[6:7], v[101:102], v[6:7], -v[72:73]
	s_wait_loadcnt 0x2
	v_mul_f64_e32 v[70:71], v[124:125], v[37:38]
	v_mul_f64_e32 v[72:73], v[124:125], v[35:36]
	scratch_load_b128 v[124:127], off, off offset:128 th:TH_LOAD_LU ; 16-byte Folded Reload
	s_wait_loadcnt 0x2
	v_mul_f64_e32 v[78:79], v[132:133], v[45:46]
	v_mul_f64_e32 v[80:81], v[132:133], v[43:44]
	v_fma_f64 v[24:25], v[116:117], v[24:25], v[86:87]
	v_fma_f64 v[26:27], v[116:117], v[26:27], -v[88:89]
	v_fma_f64 v[57:58], v[112:113], v[16:17], v[58:59]
	v_fma_f64 v[68:69], v[112:113], v[18:19], -v[68:69]
	v_add_co_u32 v86, s0, v82, s10
	s_wait_alu 0xf1ff
	v_add_co_ci_u32_e64 v87, s0, s11, v83, s0
	scratch_load_b128 v[132:135], off, off offset:176 th:TH_LOAD_LU ; 16-byte Folded Reload
	v_mad_co_u64_u32 v[88:89], null, 0xfffff8b0, s4, v[86:87]
	s_wait_alu 0xfffe
	s_delay_alu instid0(VALU_DEP_1)
	v_add_nc_u32_e32 v89, s1, v89
	v_mul_f64_e32 v[4:5], s[2:3], v[4:5]
	v_mul_f64_e32 v[6:7], s[2:3], v[6:7]
	v_fma_f64 v[35:36], v[122:123], v[35:36], v[70:71]
	v_fma_f64 v[37:38], v[122:123], v[37:38], -v[72:73]
	v_add_co_u32 v70, s0, v110, v84
	s_wait_alu 0xf1ff
	v_add_co_ci_u32_e64 v71, s0, v111, v85, s0
	v_fma_f64 v[43:44], v[130:131], v[43:44], v[78:79]
	v_fma_f64 v[45:46], v[130:131], v[45:46], -v[80:81]
	v_mul_f64_e32 v[16:17], s[2:3], v[24:25]
	v_mul_f64_e32 v[18:19], s[2:3], v[26:27]
	s_wait_loadcnt 0x2
	v_mul_f64_e32 v[74:75], v[120:121], v[30:31]
	v_mul_f64_e32 v[76:77], v[120:121], v[28:29]
	s_wait_loadcnt 0x1
	v_mul_f64_e32 v[90:91], v[126:127], v[41:42]
	v_mul_f64_e32 v[92:93], v[126:127], v[39:40]
	scratch_load_b128 v[126:129], off, off offset:144 th:TH_LOAD_LU ; 16-byte Folded Reload
	v_fma_f64 v[28:29], v[118:119], v[28:29], v[74:75]
	v_fma_f64 v[30:31], v[118:119], v[30:31], -v[76:77]
	s_wait_loadcnt 0x1
	v_mul_f64_e32 v[98:99], v[134:135], v[49:50]
	v_mul_f64_e32 v[100:101], v[134:135], v[47:48]
	scratch_load_b128 v[134:137], off, off offset:192 th:TH_LOAD_LU ; 16-byte Folded Reload
	v_fma_f64 v[39:40], v[124:125], v[39:40], v[90:91]
	v_fma_f64 v[41:42], v[124:125], v[41:42], -v[92:93]
	v_fma_f64 v[47:48], v[132:133], v[47:48], v[98:99]
	v_fma_f64 v[49:50], v[132:133], v[49:50], -v[100:101]
	s_wait_loadcnt 0x1
	v_mul_f64_e32 v[94:95], v[128:129], v[53:54]
	v_mul_f64_e32 v[96:97], v[128:129], v[51:52]
	s_wait_loadcnt 0x0
	v_mul_f64_e32 v[102:103], v[136:137], v[22:23]
	v_mul_f64_e32 v[104:105], v[136:137], v[20:21]
	scratch_load_b128 v[136:139], off, off offset:224 th:TH_LOAD_LU ; 16-byte Folded Reload
	v_fma_f64 v[51:52], v[126:127], v[51:52], v[94:95]
	v_fma_f64 v[53:54], v[126:127], v[53:54], -v[96:97]
	v_fma_f64 v[72:73], v[134:135], v[22:23], -v[104:105]
	v_mul_f64_e32 v[22:23], s[2:3], v[41:42]
	s_delay_alu instid0(VALU_DEP_4) | instskip(NEXT) | instid1(VALU_DEP_4)
	v_mul_f64_e32 v[24:25], s[2:3], v[51:52]
	v_mul_f64_e32 v[26:27], s[2:3], v[53:54]
	s_wait_loadcnt 0x0
	v_mul_f64_e32 v[55:56], v[138:139], v[62:63]
	v_mul_f64_e32 v[106:107], v[138:139], v[60:61]
	scratch_load_b128 v[138:141], off, off offset:240 th:TH_LOAD_LU ; 16-byte Folded Reload
	s_clause 0x3
	global_store_b128 v[82:83], v[0:3], off
	global_store_b128 v[86:87], v[4:7], off
	;; [unrolled: 1-line block ×4, first 2 shown]
	v_fma_f64 v[70:71], v[134:135], v[20:21], v[102:103]
	v_mul_f64_e32 v[0:1], s[2:3], v[57:58]
	v_mul_f64_e32 v[2:3], s[2:3], v[68:69]
	;; [unrolled: 1-line block ×12, first 2 shown]
	v_fma_f64 v[55:56], v[136:137], v[60:61], v[55:56]
	v_fma_f64 v[59:60], v[136:137], v[62:63], -v[106:107]
	v_add_co_u32 v63, s0, v88, s10
	v_mul_f64_e32 v[35:36], s[2:3], v[70:71]
	s_delay_alu instid0(VALU_DEP_4) | instskip(NEXT) | instid1(VALU_DEP_4)
	v_mul_f64_e32 v[39:40], s[2:3], v[55:56]
	v_mul_f64_e32 v[41:42], s[2:3], v[59:60]
	s_wait_loadcnt_dscnt 0x0
	v_mul_f64_e32 v[32:33], v[140:141], v[64:65]
	v_mul_f64_e32 v[108:109], v[140:141], v[66:67]
	s_delay_alu instid0(VALU_DEP_2) | instskip(NEXT) | instid1(VALU_DEP_2)
	v_fma_f64 v[32:33], v[138:139], v[66:67], -v[32:33]
	v_fma_f64 v[61:62], v[138:139], v[64:65], v[108:109]
	s_wait_alu 0xf1ff
	v_add_co_ci_u32_e64 v64, s0, s11, v89, s0
	v_add_co_u32 v57, s0, v63, s10
	s_wait_alu 0xf1ff
	s_delay_alu instid0(VALU_DEP_2)
	v_add_co_ci_u32_e64 v58, s0, s11, v64, s0
	global_store_b128 v[63:64], v[16:19], off
	s_movk_i32 s0, 0xfefb
	s_mov_b32 s1, -1
	global_store_b128 v[57:58], v[0:3], off
	s_wait_alu 0xfffe
	s_mul_u64 s[0:1], s[4:5], s[0:1]
	s_wait_alu 0xfffe
	s_lshl_b64 s[4:5], s[0:1], 4
	s_wait_alu 0xfffe
	v_add_co_u32 v65, s0, v57, s4
	s_wait_alu 0xf1ff
	v_add_co_ci_u32_e64 v66, s0, s5, v58, s0
	s_delay_alu instid0(VALU_DEP_2) | instskip(SKIP_1) | instid1(VALU_DEP_2)
	v_add_co_u32 v67, s0, v65, s10
	s_wait_alu 0xf1ff
	v_add_co_ci_u32_e64 v68, s0, s11, v66, s0
	global_store_b128 v[65:66], v[4:7], off
	global_store_b128 v[67:68], v[8:11], off
	v_mul_f64_e32 v[45:46], s[2:3], v[32:33]
	v_add_co_u32 v32, s0, v67, s10
	v_mul_f64_e32 v[43:44], s[2:3], v[61:62]
	s_wait_alu 0xf1ff
	v_add_co_ci_u32_e64 v33, s0, s11, v68, s0
	s_delay_alu instid0(VALU_DEP_3) | instskip(SKIP_1) | instid1(VALU_DEP_2)
	v_add_co_u32 v16, s0, v32, s4
	s_wait_alu 0xf1ff
	v_add_co_ci_u32_e64 v17, s0, s5, v33, s0
	global_store_b128 v[32:33], v[12:15], off
	v_add_co_u32 v2, s0, v16, s10
	s_wait_alu 0xf1ff
	v_add_co_ci_u32_e64 v3, s0, s11, v17, s0
	global_store_b128 v[16:17], v[20:23], off
	v_add_co_u32 v4, s0, v2, s10
	s_wait_alu 0xf1ff
	v_add_co_ci_u32_e64 v5, s0, s11, v3, s0
	s_delay_alu instid0(VALU_DEP_2) | instskip(SKIP_1) | instid1(VALU_DEP_2)
	v_add_co_u32 v6, s0, v4, s4
	s_wait_alu 0xf1ff
	v_add_co_ci_u32_e64 v7, s0, s5, v5, s0
	s_delay_alu instid0(VALU_DEP_2) | instskip(SKIP_1) | instid1(VALU_DEP_2)
	;; [unrolled: 4-line block ×3, first 2 shown]
	v_add_co_u32 v0, s0, v8, s10
	s_wait_alu 0xf1ff
	v_add_co_ci_u32_e64 v1, s0, s11, v9, s0
	global_store_b128 v[2:3], v[24:27], off
	global_store_b128 v[4:5], v[28:31], off
	;; [unrolled: 1-line block ×5, first 2 shown]
	s_and_b32 exec_lo, exec_lo, vcc_lo
	s_cbranch_execz .LBB0_31
; %bb.30:
	scratch_load_b64 v[16:17], off, off th:TH_LOAD_LU ; 8-byte Folded Reload
	s_wait_loadcnt 0x0
	global_load_b128 v[2:5], v[16:17], off offset:2160
	ds_load_b128 v[6:9], v34 offset:2160
	ds_load_b128 v[10:13], v34 offset:4464
	s_wait_loadcnt_dscnt 0x1
	v_mul_f64_e32 v[14:15], v[8:9], v[4:5]
	v_mul_f64_e32 v[4:5], v[6:7], v[4:5]
	s_delay_alu instid0(VALU_DEP_2) | instskip(NEXT) | instid1(VALU_DEP_2)
	v_fma_f64 v[6:7], v[6:7], v[2:3], v[14:15]
	v_fma_f64 v[4:5], v[2:3], v[8:9], -v[4:5]
	s_delay_alu instid0(VALU_DEP_2) | instskip(NEXT) | instid1(VALU_DEP_2)
	v_mul_f64_e32 v[2:3], s[2:3], v[6:7]
	v_mul_f64_e32 v[4:5], s[2:3], v[4:5]
	v_add_co_u32 v6, vcc_lo, v0, s4
	s_wait_alu 0xfffd
	v_add_co_ci_u32_e32 v7, vcc_lo, s5, v1, vcc_lo
	s_delay_alu instid0(VALU_DEP_2) | instskip(SKIP_1) | instid1(VALU_DEP_2)
	v_add_co_u32 v8, vcc_lo, v6, s10
	s_wait_alu 0xfffd
	v_add_co_ci_u32_e32 v9, vcc_lo, s11, v7, vcc_lo
	global_store_b128 v[6:7], v[2:5], off
	global_load_b128 v[0:3], v[16:17], off offset:4464
	s_wait_loadcnt_dscnt 0x0
	v_mul_f64_e32 v[4:5], v[12:13], v[2:3]
	v_mul_f64_e32 v[2:3], v[10:11], v[2:3]
	s_delay_alu instid0(VALU_DEP_2) | instskip(NEXT) | instid1(VALU_DEP_2)
	v_fma_f64 v[4:5], v[10:11], v[0:1], v[4:5]
	v_fma_f64 v[2:3], v[0:1], v[12:13], -v[2:3]
	s_delay_alu instid0(VALU_DEP_2) | instskip(NEXT) | instid1(VALU_DEP_2)
	v_mul_f64_e32 v[0:1], s[2:3], v[4:5]
	v_mul_f64_e32 v[2:3], s[2:3], v[2:3]
	ds_load_b128 v[4:7], v34 offset:6768
	global_store_b128 v[8:9], v[0:3], off
	global_load_b128 v[0:3], v[16:17], off offset:6768
	s_wait_loadcnt_dscnt 0x0
	v_mul_f64_e32 v[10:11], v[6:7], v[2:3]
	v_mul_f64_e32 v[2:3], v[4:5], v[2:3]
	s_delay_alu instid0(VALU_DEP_2) | instskip(NEXT) | instid1(VALU_DEP_2)
	v_fma_f64 v[4:5], v[4:5], v[0:1], v[10:11]
	v_fma_f64 v[2:3], v[0:1], v[6:7], -v[2:3]
	s_delay_alu instid0(VALU_DEP_2) | instskip(NEXT) | instid1(VALU_DEP_2)
	v_mul_f64_e32 v[0:1], s[2:3], v[4:5]
	v_mul_f64_e32 v[2:3], s[2:3], v[2:3]
	v_add_co_u32 v4, vcc_lo, v8, s10
	s_wait_alu 0xfffd
	v_add_co_ci_u32_e32 v5, vcc_lo, s11, v9, vcc_lo
	global_store_b128 v[4:5], v[0:3], off
.LBB0_31:
	s_nop 0
	s_sendmsg sendmsg(MSG_DEALLOC_VGPRS)
	s_endpgm
	.section	.rodata,"a",@progbits
	.p2align	6, 0x0
	.amdhsa_kernel bluestein_single_back_len432_dim1_dp_op_CI_CI
		.amdhsa_group_segment_fixed_size 13824
		.amdhsa_private_segment_fixed_size 340
		.amdhsa_kernarg_size 104
		.amdhsa_user_sgpr_count 2
		.amdhsa_user_sgpr_dispatch_ptr 0
		.amdhsa_user_sgpr_queue_ptr 0
		.amdhsa_user_sgpr_kernarg_segment_ptr 1
		.amdhsa_user_sgpr_dispatch_id 0
		.amdhsa_user_sgpr_private_segment_size 0
		.amdhsa_wavefront_size32 1
		.amdhsa_uses_dynamic_stack 0
		.amdhsa_enable_private_segment 1
		.amdhsa_system_sgpr_workgroup_id_x 1
		.amdhsa_system_sgpr_workgroup_id_y 0
		.amdhsa_system_sgpr_workgroup_id_z 0
		.amdhsa_system_sgpr_workgroup_info 0
		.amdhsa_system_vgpr_workitem_id 0
		.amdhsa_next_free_vgpr 256
		.amdhsa_next_free_sgpr 22
		.amdhsa_reserve_vcc 1
		.amdhsa_float_round_mode_32 0
		.amdhsa_float_round_mode_16_64 0
		.amdhsa_float_denorm_mode_32 3
		.amdhsa_float_denorm_mode_16_64 3
		.amdhsa_fp16_overflow 0
		.amdhsa_workgroup_processor_mode 1
		.amdhsa_memory_ordered 1
		.amdhsa_forward_progress 0
		.amdhsa_round_robin_scheduling 0
		.amdhsa_exception_fp_ieee_invalid_op 0
		.amdhsa_exception_fp_denorm_src 0
		.amdhsa_exception_fp_ieee_div_zero 0
		.amdhsa_exception_fp_ieee_overflow 0
		.amdhsa_exception_fp_ieee_underflow 0
		.amdhsa_exception_fp_ieee_inexact 0
		.amdhsa_exception_int_div_zero 0
	.end_amdhsa_kernel
	.text
.Lfunc_end0:
	.size	bluestein_single_back_len432_dim1_dp_op_CI_CI, .Lfunc_end0-bluestein_single_back_len432_dim1_dp_op_CI_CI
                                        ; -- End function
	.section	.AMDGPU.csdata,"",@progbits
; Kernel info:
; codeLenInByte = 18424
; NumSgprs: 24
; NumVgprs: 256
; ScratchSize: 340
; MemoryBound: 0
; FloatMode: 240
; IeeeMode: 1
; LDSByteSize: 13824 bytes/workgroup (compile time only)
; SGPRBlocks: 2
; VGPRBlocks: 31
; NumSGPRsForWavesPerEU: 24
; NumVGPRsForWavesPerEU: 256
; Occupancy: 5
; WaveLimiterHint : 1
; COMPUTE_PGM_RSRC2:SCRATCH_EN: 1
; COMPUTE_PGM_RSRC2:USER_SGPR: 2
; COMPUTE_PGM_RSRC2:TRAP_HANDLER: 0
; COMPUTE_PGM_RSRC2:TGID_X_EN: 1
; COMPUTE_PGM_RSRC2:TGID_Y_EN: 0
; COMPUTE_PGM_RSRC2:TGID_Z_EN: 0
; COMPUTE_PGM_RSRC2:TIDIG_COMP_CNT: 0
	.text
	.p2alignl 7, 3214868480
	.fill 96, 4, 3214868480
	.type	__hip_cuid_d7d22b943e0066d3,@object ; @__hip_cuid_d7d22b943e0066d3
	.section	.bss,"aw",@nobits
	.globl	__hip_cuid_d7d22b943e0066d3
__hip_cuid_d7d22b943e0066d3:
	.byte	0                               ; 0x0
	.size	__hip_cuid_d7d22b943e0066d3, 1

	.ident	"AMD clang version 19.0.0git (https://github.com/RadeonOpenCompute/llvm-project roc-6.4.0 25133 c7fe45cf4b819c5991fe208aaa96edf142730f1d)"
	.section	".note.GNU-stack","",@progbits
	.addrsig
	.addrsig_sym __hip_cuid_d7d22b943e0066d3
	.amdgpu_metadata
---
amdhsa.kernels:
  - .args:
      - .actual_access:  read_only
        .address_space:  global
        .offset:         0
        .size:           8
        .value_kind:     global_buffer
      - .actual_access:  read_only
        .address_space:  global
        .offset:         8
        .size:           8
        .value_kind:     global_buffer
      - .actual_access:  read_only
        .address_space:  global
        .offset:         16
        .size:           8
        .value_kind:     global_buffer
      - .actual_access:  read_only
        .address_space:  global
        .offset:         24
        .size:           8
        .value_kind:     global_buffer
      - .actual_access:  read_only
        .address_space:  global
        .offset:         32
        .size:           8
        .value_kind:     global_buffer
      - .offset:         40
        .size:           8
        .value_kind:     by_value
      - .address_space:  global
        .offset:         48
        .size:           8
        .value_kind:     global_buffer
      - .address_space:  global
        .offset:         56
        .size:           8
        .value_kind:     global_buffer
      - .address_space:  global
        .offset:         64
        .size:           8
        .value_kind:     global_buffer
      - .address_space:  global
        .offset:         72
        .size:           8
        .value_kind:     global_buffer
      - .offset:         80
        .size:           4
        .value_kind:     by_value
      - .address_space:  global
        .offset:         88
        .size:           8
        .value_kind:     global_buffer
      - .address_space:  global
        .offset:         96
        .size:           8
        .value_kind:     global_buffer
    .group_segment_fixed_size: 13824
    .kernarg_segment_align: 8
    .kernarg_segment_size: 104
    .language:       OpenCL C
    .language_version:
      - 2
      - 0
    .max_flat_workgroup_size: 54
    .name:           bluestein_single_back_len432_dim1_dp_op_CI_CI
    .private_segment_fixed_size: 340
    .sgpr_count:     24
    .sgpr_spill_count: 0
    .symbol:         bluestein_single_back_len432_dim1_dp_op_CI_CI.kd
    .uniform_work_group_size: 1
    .uses_dynamic_stack: false
    .vgpr_count:     256
    .vgpr_spill_count: 84
    .wavefront_size: 32
    .workgroup_processor_mode: 1
amdhsa.target:   amdgcn-amd-amdhsa--gfx1201
amdhsa.version:
  - 1
  - 2
...

	.end_amdgpu_metadata
